;; amdgpu-corpus repo=ROCm/rocFFT kind=compiled arch=gfx950 opt=O3
	.text
	.amdgcn_target "amdgcn-amd-amdhsa--gfx950"
	.amdhsa_code_object_version 6
	.protected	bluestein_single_fwd_len495_dim1_sp_op_CI_CI ; -- Begin function bluestein_single_fwd_len495_dim1_sp_op_CI_CI
	.globl	bluestein_single_fwd_len495_dim1_sp_op_CI_CI
	.p2align	8
	.type	bluestein_single_fwd_len495_dim1_sp_op_CI_CI,@function
bluestein_single_fwd_len495_dim1_sp_op_CI_CI: ; @bluestein_single_fwd_len495_dim1_sp_op_CI_CI
; %bb.0:
	s_load_dwordx4 s[8:11], s[0:1], 0x28
	v_mul_u32_u24_e32 v1, 0x4a8, v0
	v_mov_b32_e32 v53, 0
	v_add_u32_sdwa v54, s2, v1 dst_sel:DWORD dst_unused:UNUSED_PAD src0_sel:DWORD src1_sel:WORD_1
	v_mov_b32_e32 v55, v53
	s_waitcnt lgkmcnt(0)
	v_cmp_gt_u64_e32 vcc, s[8:9], v[54:55]
	s_and_saveexec_b64 s[2:3], vcc
	s_cbranch_execz .LBB0_27
; %bb.1:
	s_load_dwordx2 s[8:9], s[0:1], 0x0
	s_load_dwordx2 s[12:13], s[0:1], 0x38
	v_mov_b32_e32 v2, 55
	v_mul_lo_u16_sdwa v1, v1, v2 dst_sel:DWORD dst_unused:UNUSED_PAD src0_sel:WORD_1 src1_sel:DWORD
	v_sub_u16_e32 v52, v0, v1
	v_cmp_gt_u16_e32 vcc, 45, v52
	v_lshlrev_b32_e32 v55, 3, v52
	s_and_saveexec_b64 s[2:3], vcc
	s_cbranch_execz .LBB0_3
; %bb.2:
	s_load_dwordx2 s[4:5], s[0:1], 0x18
	v_mov_b32_e32 v0, s10
	v_mov_b32_e32 v1, s11
	;; [unrolled: 1-line block ×3, first 2 shown]
	v_add_u32_e32 v46, 0x800, v55
	s_waitcnt lgkmcnt(0)
	s_load_dwordx4 s[4:7], s[4:5], 0x0
	s_waitcnt lgkmcnt(0)
	v_mad_u64_u32 v[2:3], s[10:11], s6, v54, 0
	v_mad_u64_u32 v[4:5], s[10:11], s4, v52, 0
	v_mov_b32_e32 v6, v3
	v_mov_b32_e32 v8, v5
	v_mad_u64_u32 v[6:7], s[6:7], s7, v54, v[6:7]
	v_mov_b32_e32 v3, v6
	v_mad_u64_u32 v[6:7], s[6:7], s5, v52, v[8:9]
	v_mov_b32_e32 v5, v6
	v_lshl_add_u64 v[0:1], v[2:3], 3, v[0:1]
	v_lshl_add_u64 v[0:1], v[4:5], 3, v[0:1]
	global_load_dwordx2 v[2:3], v[0:1], off
	v_mad_u64_u32 v[0:1], s[6:7], s4, v42, v[0:1]
	s_mul_i32 s10, s5, 0x168
	v_add_u32_e32 v1, s10, v1
	global_load_dwordx2 v[4:5], v[0:1], off
	global_load_dwordx2 v[6:7], v55, s[8:9]
	v_mad_u64_u32 v[0:1], s[6:7], s4, v42, v[0:1]
	v_add_u32_e32 v1, s10, v1
	v_mad_u64_u32 v[10:11], s[6:7], s4, v42, v[0:1]
	v_add_u32_e32 v11, s10, v11
	global_load_dwordx2 v[8:9], v55, s[8:9] offset:360
	global_load_dwordx2 v[12:13], v55, s[8:9] offset:720
	;; [unrolled: 1-line block ×3, first 2 shown]
	global_load_dwordx2 v[16:17], v[0:1], off
	v_mad_u64_u32 v[0:1], s[6:7], s4, v42, v[10:11]
	v_add_u32_e32 v1, s10, v1
	global_load_dwordx2 v[18:19], v[10:11], off
	global_load_dwordx2 v[20:21], v[0:1], off
	v_mad_u64_u32 v[0:1], s[6:7], s4, v42, v[0:1]
	v_add_u32_e32 v1, s10, v1
	global_load_dwordx2 v[10:11], v55, s[8:9] offset:1440
	global_load_dwordx2 v[22:23], v[0:1], off
	v_mad_u64_u32 v[0:1], s[6:7], s4, v42, v[0:1]
	v_add_u32_e32 v1, s10, v1
	global_load_dwordx2 v[26:27], v[0:1], off
	v_mad_u64_u32 v[0:1], s[6:7], s4, v42, v[0:1]
	v_add_u32_e32 v1, s10, v1
	global_load_dwordx2 v[24:25], v55, s[8:9] offset:1800
	global_load_dwordx2 v[28:29], v55, s[8:9] offset:2160
	global_load_dwordx2 v[30:31], v[0:1], off
	global_load_dwordx2 v[32:33], v55, s[8:9] offset:2520
	v_mad_u64_u32 v[0:1], s[6:7], s4, v42, v[0:1]
	v_add_u32_e32 v1, s10, v1
	global_load_dwordx2 v[34:35], v[0:1], off
	global_load_dwordx2 v[36:37], v55, s[8:9] offset:2880
	v_mad_u64_u32 v[0:1], s[6:7], s4, v42, v[0:1]
	v_add_u32_e32 v1, s10, v1
	global_load_dwordx2 v[38:39], v[0:1], off
	global_load_dwordx2 v[40:41], v55, s[8:9] offset:3240
	v_mad_u64_u32 v[0:1], s[4:5], s4, v42, v[0:1]
	v_add_u32_e32 v1, s10, v1
	global_load_dwordx2 v[42:43], v55, s[8:9] offset:3600
	global_load_dwordx2 v[44:45], v[0:1], off
	s_waitcnt vmcnt(19)
	v_mul_f32_e32 v0, v3, v7
	v_mul_f32_e32 v1, v2, v7
	v_fmac_f32_e32 v0, v2, v6
	v_fma_f32 v1, v3, v6, -v1
	s_waitcnt vmcnt(18)
	v_mul_f32_e32 v2, v5, v9
	v_mul_f32_e32 v3, v4, v9
	v_fmac_f32_e32 v2, v4, v8
	v_fma_f32 v3, v5, v8, -v3
	ds_write2_b64 v55, v[0:1], v[2:3] offset1:45
	s_waitcnt vmcnt(15)
	v_mul_f32_e32 v0, v17, v13
	v_mul_f32_e32 v1, v16, v13
	s_waitcnt vmcnt(14)
	v_mul_f32_e32 v2, v19, v15
	v_mul_f32_e32 v3, v18, v15
	v_fmac_f32_e32 v0, v16, v12
	v_fma_f32 v1, v17, v12, -v1
	v_fmac_f32_e32 v2, v18, v14
	v_fma_f32 v3, v19, v14, -v3
	ds_write2_b64 v55, v[0:1], v[2:3] offset0:90 offset1:135
	s_waitcnt vmcnt(12)
	v_mul_f32_e32 v0, v21, v11
	v_mul_f32_e32 v1, v20, v11
	v_fmac_f32_e32 v0, v20, v10
	s_waitcnt vmcnt(9)
	v_mul_f32_e32 v2, v23, v25
	v_mul_f32_e32 v3, v22, v25
	v_fma_f32 v1, v21, v10, -v1
	v_fmac_f32_e32 v2, v22, v24
	v_fma_f32 v3, v23, v24, -v3
	ds_write2_b64 v55, v[0:1], v[2:3] offset0:180 offset1:225
	s_waitcnt vmcnt(8)
	v_mul_f32_e32 v0, v27, v29
	v_mul_f32_e32 v1, v26, v29
	s_waitcnt vmcnt(6)
	v_mul_f32_e32 v2, v31, v33
	v_mul_f32_e32 v3, v30, v33
	v_fmac_f32_e32 v0, v26, v28
	v_fma_f32 v1, v27, v28, -v1
	v_fmac_f32_e32 v2, v30, v32
	v_fma_f32 v3, v31, v32, -v3
	ds_write2_b64 v46, v[0:1], v[2:3] offset0:14 offset1:59
	s_waitcnt vmcnt(4)
	v_mul_f32_e32 v0, v35, v37
	v_mul_f32_e32 v1, v34, v37
	s_waitcnt vmcnt(2)
	v_mul_f32_e32 v2, v39, v41
	v_mul_f32_e32 v3, v38, v41
	v_fmac_f32_e32 v0, v34, v36
	v_fma_f32 v1, v35, v36, -v1
	v_fmac_f32_e32 v2, v38, v40
	v_fma_f32 v3, v39, v40, -v3
	ds_write2_b64 v46, v[0:1], v[2:3] offset0:104 offset1:149
	s_waitcnt vmcnt(0)
	v_mul_f32_e32 v0, v45, v43
	v_mul_f32_e32 v1, v44, v43
	v_fmac_f32_e32 v0, v44, v42
	v_fma_f32 v1, v45, v42, -v1
	ds_write_b64 v55, v[0:1] offset:3600
.LBB0_3:
	s_or_b64 exec, exec, s[2:3]
	s_load_dwordx2 s[2:3], s[0:1], 0x20
	s_load_dwordx2 s[10:11], s[0:1], 0x8
	v_mov_b64_e32 v[0:1], 0
	s_waitcnt lgkmcnt(0)
	; wave barrier
	s_waitcnt lgkmcnt(0)
                                        ; implicit-def: $vgpr8
                                        ; implicit-def: $vgpr6
                                        ; implicit-def: $vgpr16
                                        ; implicit-def: $vgpr14
                                        ; implicit-def: $vgpr42
	s_and_saveexec_b64 s[0:1], vcc
	s_cbranch_execz .LBB0_5
; %bb.4:
	v_add_u32_e32 v16, 0x800, v55
	ds_read2_b64 v[0:3], v55 offset1:45
	ds_read2_b64 v[12:15], v55 offset0:90 offset1:135
	ds_read2_b64 v[4:7], v55 offset0:180 offset1:225
	;; [unrolled: 1-line block ×4, first 2 shown]
	ds_read_b64 v[42:43], v55 offset:3600
.LBB0_5:
	s_or_b64 exec, exec, s[0:1]
	s_waitcnt lgkmcnt(0)
	v_pk_add_f32 v[34:35], v[2:3], v[42:43] neg_lo:[0,1] neg_hi:[0,1]
	s_mov_b32 s22, 0xbf0a6770
	v_pk_add_f32 v[32:33], v[42:43], v[2:3]
	v_pk_add_f32 v[30:31], v[12:13], v[18:19] neg_lo:[0,1] neg_hi:[0,1]
	s_mov_b32 s4, 0x3f575c64
	v_pk_mul_f32 v[36:37], v[34:35], s[22:23] op_sel_hi:[1,0]
	s_mov_b32 s16, 0xbf68dda4
	v_pk_add_f32 v[28:29], v[18:19], v[12:13]
	v_pk_fma_f32 v[44:45], v[32:33], s[4:5], v[36:37] op_sel:[0,0,1] op_sel_hi:[1,0,0]
	v_pk_fma_f32 v[46:47], v[32:33], s[4:5], v[36:37] op_sel:[0,0,1] op_sel_hi:[1,0,0] neg_lo:[0,0,1] neg_hi:[0,0,1]
	s_mov_b32 s0, 0x3ed4b147
	v_pk_mul_f32 v[38:39], v[30:31], s[16:17] op_sel_hi:[1,0]
	v_mov_b32_e32 v36, v44
	v_mov_b32_e32 v37, v47
	v_pk_fma_f32 v[48:49], v[28:29], s[0:1], v[38:39] op_sel:[0,0,1] op_sel_hi:[1,0,0]
	v_pk_fma_f32 v[50:51], v[28:29], s[0:1], v[38:39] op_sel:[0,0,1] op_sel_hi:[1,0,0] neg_lo:[0,0,1] neg_hi:[0,0,1]
	v_pk_add_f32 v[26:27], v[14:15], v[16:17] neg_lo:[0,1] neg_hi:[0,1]
	v_pk_add_f32 v[36:37], v[36:37], v[0:1]
	v_mov_b32_e32 v38, v48
	v_mov_b32_e32 v39, v51
	s_mov_b32 s14, 0xbf7d64f0
	v_pk_add_f32 v[24:25], v[16:17], v[14:15]
	v_pk_add_f32 v[36:37], v[38:39], v[36:37]
	s_mov_b32 s6, 0xbe11bafb
	v_pk_mul_f32 v[38:39], v[26:27], s[14:15] op_sel_hi:[1,0]
	v_pk_add_f32 v[22:23], v[4:5], v[10:11] neg_lo:[0,1] neg_hi:[0,1]
	v_pk_fma_f32 v[58:59], v[24:25], s[6:7], v[38:39] op_sel:[0,0,1] op_sel_hi:[1,0,0]
	v_pk_fma_f32 v[60:61], v[24:25], s[6:7], v[38:39] op_sel:[0,0,1] op_sel_hi:[1,0,0] neg_lo:[0,0,1] neg_hi:[0,0,1]
	v_mov_b32_e32 v38, v58
	v_mov_b32_e32 v39, v61
	s_mov_b32 s20, 0xbf4178ce
	v_pk_add_f32 v[20:21], v[10:11], v[4:5]
	v_pk_add_f32 v[36:37], v[38:39], v[36:37]
	s_mov_b32 s18, 0xbf27a4f4
	v_pk_mul_f32 v[38:39], v[22:23], s[20:21] op_sel_hi:[1,0]
	s_mov_b32 s26, 0xbe903f40
	v_pk_fma_f32 v[62:63], v[20:21], s[18:19], v[38:39] op_sel:[0,0,1] op_sel_hi:[1,0,0]
	v_pk_fma_f32 v[64:65], v[20:21], s[18:19], v[38:39] op_sel:[0,0,1] op_sel_hi:[1,0,0] neg_lo:[0,0,1] neg_hi:[0,0,1]
	v_mov_b32_e32 v38, v62
	v_mov_b32_e32 v39, v65
	v_pk_add_f32 v[40:41], v[38:39], v[36:37]
	v_pk_add_f32 v[38:39], v[6:7], v[8:9] neg_lo:[0,1] neg_hi:[0,1]
	v_pk_add_f32 v[36:37], v[8:9], v[6:7]
	s_mov_b32 s24, 0xbf75a155
	v_pk_mul_f32 v[56:57], v[38:39], s[26:27] op_sel_hi:[1,0]
	v_pk_mul_f32 v[72:73], v[30:31], s[20:21] op_sel_hi:[1,0]
	v_pk_fma_f32 v[74:75], v[36:37], s[24:25], v[56:57] op_sel:[0,0,1] op_sel_hi:[1,0,0]
	v_pk_fma_f32 v[76:77], v[36:37], s[24:25], v[56:57] op_sel:[0,0,1] op_sel_hi:[1,0,0] neg_lo:[0,0,1] neg_hi:[0,0,1]
	v_mov_b32_e32 v56, v74
	v_mov_b32_e32 v57, v77
	v_pk_add_f32 v[56:57], v[56:57], v[40:41]
	v_pk_mul_f32 v[40:41], v[34:35], s[16:17] op_sel_hi:[1,0]
	v_pk_fma_f32 v[70:71], v[28:29], s[18:19], v[72:73] op_sel:[0,0,1] op_sel_hi:[1,0,0]
	v_pk_fma_f32 v[66:67], v[32:33], s[0:1], v[40:41] op_sel:[0,0,1] op_sel_hi:[1,0,0]
	v_pk_fma_f32 v[68:69], v[32:33], s[0:1], v[40:41] op_sel:[0,0,1] op_sel_hi:[1,0,0] neg_lo:[0,0,1] neg_hi:[0,0,1]
	v_mov_b32_e32 v40, v66
	v_mov_b32_e32 v41, v69
	v_pk_fma_f32 v[72:73], v[28:29], s[18:19], v[72:73] op_sel:[0,0,1] op_sel_hi:[1,0,0] neg_lo:[0,0,1] neg_hi:[0,0,1]
	s_mov_b32 s34, 0x3e903f40
	v_mov_b32_e32 v78, v70
	v_mov_b32_e32 v79, v73
	v_pk_add_f32 v[40:41], v[40:41], v[0:1]
	v_pk_mul_f32 v[80:81], v[26:27], s[34:35] op_sel_hi:[1,0]
	v_pk_add_f32 v[40:41], v[78:79], v[40:41]
	v_pk_fma_f32 v[78:79], v[24:25], s[24:25], v[80:81] op_sel:[0,0,1] op_sel_hi:[1,0,0]
	v_pk_fma_f32 v[80:81], v[24:25], s[24:25], v[80:81] op_sel:[0,0,1] op_sel_hi:[1,0,0] neg_lo:[0,0,1] neg_hi:[0,0,1]
	s_mov_b32 s30, 0x3f7d64f0
	v_mov_b32_e32 v82, v78
	v_mov_b32_e32 v83, v81
	v_pk_mul_f32 v[84:85], v[22:23], s[30:31] op_sel_hi:[1,0]
	v_pk_add_f32 v[40:41], v[82:83], v[40:41]
	v_pk_fma_f32 v[82:83], v[20:21], s[6:7], v[84:85] op_sel:[0,0,1] op_sel_hi:[1,0,0]
	v_pk_fma_f32 v[84:85], v[20:21], s[6:7], v[84:85] op_sel:[0,0,1] op_sel_hi:[1,0,0] neg_lo:[0,0,1] neg_hi:[0,0,1]
	s_mov_b32 s28, 0x3f0a6770
	v_mov_b32_e32 v86, v82
	v_mov_b32_e32 v87, v85
	v_pk_mul_f32 v[88:89], v[38:39], s[28:29] op_sel_hi:[1,0]
	v_pk_add_f32 v[40:41], v[86:87], v[40:41]
	v_pk_fma_f32 v[86:87], v[36:37], s[4:5], v[88:89] op_sel:[0,0,1] op_sel_hi:[1,0,0]
	v_pk_fma_f32 v[88:89], v[36:37], s[4:5], v[88:89] op_sel:[0,0,1] op_sel_hi:[1,0,0] neg_lo:[0,0,1] neg_hi:[0,0,1]
	v_mov_b32_e32 v90, v86
	v_mov_b32_e32 v91, v89
	v_pk_add_f32 v[40:41], v[90:91], v[40:41]
	v_mul_lo_u16_e32 v101, 11, v52
	s_waitcnt lgkmcnt(0)
	; wave barrier
	s_and_saveexec_b64 s[16:17], vcc
	s_cbranch_execz .LBB0_7
; %bb.6:
	v_pk_add_f32 v[2:3], v[2:3], v[0:1]
	v_mov_b32_e32 v47, v45
	v_pk_add_f32 v[2:3], v[12:13], v[2:3]
	v_mov_b32_e32 v51, v49
	;; [unrolled: 2-line block ×3, first 2 shown]
	v_pk_add_f32 v[2:3], v[4:5], v[2:3]
	v_pk_add_f32 v[4:5], v[46:47], v[0:1]
	;; [unrolled: 1-line block ×7, first 2 shown]
	v_mov_b32_e32 v65, v63
	v_pk_add_f32 v[2:3], v[16:17], v[2:3]
	v_pk_add_f32 v[4:5], v[64:65], v[4:5]
	;; [unrolled: 1-line block ×3, first 2 shown]
	v_mov_b32_e32 v77, v75
	v_lshlrev_b32_e32 v78, 3, v101
	v_pk_add_f32 v[2:3], v[42:43], v[2:3]
	v_pk_add_f32 v[4:5], v[76:77], v[4:5]
	ds_write2_b64 v78, v[2:3], v[4:5] offset1:1
	v_pk_mul_f32 v[4:5], v[34:35], s[14:15] op_sel_hi:[1,0]
	v_pk_mul_f32 v[10:11], v[30:31], s[34:35] op_sel_hi:[1,0]
	v_pk_fma_f32 v[6:7], v[32:33], s[6:7], v[4:5] op_sel:[0,0,1] op_sel_hi:[1,0,0] neg_lo:[0,0,1] neg_hi:[0,0,1]
	v_pk_fma_f32 v[4:5], v[32:33], s[6:7], v[4:5] op_sel:[0,0,1] op_sel_hi:[1,0,0]
	v_mov_b32_e32 v8, v6
	v_mov_b32_e32 v9, v5
	v_pk_fma_f32 v[12:13], v[28:29], s[24:25], v[10:11] op_sel:[0,0,1] op_sel_hi:[1,0,0] neg_lo:[0,0,1] neg_hi:[0,0,1]
	v_pk_fma_f32 v[10:11], v[28:29], s[24:25], v[10:11] op_sel:[0,0,1] op_sel_hi:[1,0,0]
	v_pk_add_f32 v[8:9], v[8:9], v[0:1]
	v_mov_b32_e32 v14, v12
	v_mov_b32_e32 v15, v11
	s_mov_b32 s34, 0x3f68dda4
	v_pk_add_f32 v[8:9], v[14:15], v[8:9]
	v_pk_mul_f32 v[14:15], v[26:27], s[34:35] op_sel_hi:[1,0]
	v_mov_b32_e32 v69, v67
	v_pk_fma_f32 v[16:17], v[24:25], s[0:1], v[14:15] op_sel:[0,0,1] op_sel_hi:[1,0,0] neg_lo:[0,0,1] neg_hi:[0,0,1]
	v_pk_fma_f32 v[14:15], v[24:25], s[0:1], v[14:15] op_sel:[0,0,1] op_sel_hi:[1,0,0]
	v_mov_b32_e32 v18, v16
	v_mov_b32_e32 v19, v15
	v_pk_add_f32 v[8:9], v[18:19], v[8:9]
	v_pk_mul_f32 v[18:19], v[22:23], s[22:23] op_sel_hi:[1,0]
	v_pk_add_f32 v[2:3], v[68:69], v[0:1]
	v_pk_fma_f32 v[42:43], v[20:21], s[4:5], v[18:19] op_sel:[0,0,1] op_sel_hi:[1,0,0] neg_lo:[0,0,1] neg_hi:[0,0,1]
	v_pk_fma_f32 v[18:19], v[20:21], s[4:5], v[18:19] op_sel:[0,0,1] op_sel_hi:[1,0,0]
	v_mov_b32_e32 v73, v71
	v_mov_b32_e32 v44, v42
	;; [unrolled: 1-line block ×3, first 2 shown]
	v_pk_add_f32 v[2:3], v[72:73], v[2:3]
	v_mov_b32_e32 v81, v79
	v_pk_add_f32 v[8:9], v[44:45], v[8:9]
	v_pk_mul_f32 v[44:45], v[38:39], s[20:21] op_sel_hi:[1,0]
	v_pk_add_f32 v[2:3], v[80:81], v[2:3]
	v_mov_b32_e32 v85, v83
	v_pk_fma_f32 v[46:47], v[36:37], s[18:19], v[44:45] op_sel:[0,0,1] op_sel_hi:[1,0,0] neg_lo:[0,0,1] neg_hi:[0,0,1]
	v_pk_fma_f32 v[44:45], v[36:37], s[18:19], v[44:45] op_sel:[0,0,1] op_sel_hi:[1,0,0]
	v_pk_add_f32 v[2:3], v[84:85], v[2:3]
	v_mov_b32_e32 v89, v87
	v_mov_b32_e32 v48, v46
	;; [unrolled: 1-line block ×3, first 2 shown]
	v_pk_add_f32 v[2:3], v[88:89], v[2:3]
	v_pk_add_f32 v[8:9], v[48:49], v[8:9]
	ds_write2_b64 v78, v[2:3], v[8:9] offset0:2 offset1:3
	v_pk_mul_f32 v[2:3], v[34:35], s[20:21] op_sel_hi:[1,0]
	v_pk_mul_f32 v[50:51], v[30:31], s[30:31] op_sel_hi:[1,0]
	v_pk_fma_f32 v[8:9], v[32:33], s[18:19], v[2:3] op_sel:[0,0,1] op_sel_hi:[1,0,0] neg_lo:[0,0,1] neg_hi:[0,0,1]
	v_pk_fma_f32 v[2:3], v[32:33], s[18:19], v[2:3] op_sel:[0,0,1] op_sel_hi:[1,0,0]
	v_mov_b32_e32 v48, v8
	v_mov_b32_e32 v49, v3
	v_pk_fma_f32 v[58:59], v[28:29], s[6:7], v[50:51] op_sel:[0,0,1] op_sel_hi:[1,0,0] neg_lo:[0,0,1] neg_hi:[0,0,1]
	v_pk_fma_f32 v[50:51], v[28:29], s[6:7], v[50:51] op_sel:[0,0,1] op_sel_hi:[1,0,0]
	v_pk_add_f32 v[48:49], v[48:49], v[0:1]
	v_mov_b32_e32 v60, v58
	v_mov_b32_e32 v61, v51
	v_pk_add_f32 v[48:49], v[60:61], v[48:49]
	v_pk_mul_f32 v[60:61], v[26:27], s[22:23] op_sel_hi:[1,0]
	v_pk_mul_f32 v[34:35], v[34:35], s[26:27] op_sel_hi:[1,0]
	v_pk_fma_f32 v[62:63], v[24:25], s[4:5], v[60:61] op_sel:[0,0,1] op_sel_hi:[1,0,0] neg_lo:[0,0,1] neg_hi:[0,0,1]
	v_pk_fma_f32 v[60:61], v[24:25], s[4:5], v[60:61] op_sel:[0,0,1] op_sel_hi:[1,0,0]
	v_mov_b32_e32 v64, v62
	v_mov_b32_e32 v65, v61
	v_pk_add_f32 v[48:49], v[64:65], v[48:49]
	v_pk_mul_f32 v[64:65], v[22:23], s[26:27] op_sel_hi:[1,0]
	v_pk_mul_f32 v[30:31], v[30:31], s[28:29] op_sel_hi:[1,0]
	v_pk_fma_f32 v[66:67], v[20:21], s[24:25], v[64:65] op_sel:[0,0,1] op_sel_hi:[1,0,0] neg_lo:[0,0,1] neg_hi:[0,0,1]
	v_pk_fma_f32 v[64:65], v[20:21], s[24:25], v[64:65] op_sel:[0,0,1] op_sel_hi:[1,0,0]
	v_mov_b32_e32 v68, v66
	v_mov_b32_e32 v69, v65
	v_pk_add_f32 v[48:49], v[68:69], v[48:49]
	v_pk_mul_f32 v[68:69], v[38:39], s[34:35] op_sel_hi:[1,0]
	v_pk_fma_f32 v[74:75], v[28:29], s[4:5], v[30:31] op_sel:[0,0,1] op_sel_hi:[1,0,0] neg_lo:[0,0,1] neg_hi:[0,0,1]
	v_pk_fma_f32 v[70:71], v[36:37], s[0:1], v[68:69] op_sel:[0,0,1] op_sel_hi:[1,0,0] neg_lo:[0,0,1] neg_hi:[0,0,1]
	v_pk_fma_f32 v[68:69], v[36:37], s[0:1], v[68:69] op_sel:[0,0,1] op_sel_hi:[1,0,0]
	v_mov_b32_e32 v72, v70
	v_mov_b32_e32 v73, v69
	v_pk_add_f32 v[48:49], v[72:73], v[48:49]
	v_pk_fma_f32 v[72:73], v[32:33], s[24:25], v[34:35] op_sel:[0,0,1] op_sel_hi:[1,0,0] neg_lo:[0,0,1] neg_hi:[0,0,1]
	v_pk_fma_f32 v[32:33], v[32:33], s[24:25], v[34:35] op_sel:[0,0,1] op_sel_hi:[1,0,0]
	v_mov_b32_e32 v34, v72
	v_mov_b32_e32 v35, v33
	v_pk_fma_f32 v[28:29], v[28:29], s[4:5], v[30:31] op_sel:[0,0,1] op_sel_hi:[1,0,0]
	v_pk_add_f32 v[34:35], v[34:35], v[0:1]
	v_mov_b32_e32 v30, v74
	v_mov_b32_e32 v31, v29
	v_pk_mul_f32 v[26:27], v[26:27], s[20:21] op_sel_hi:[1,0]
	v_pk_add_f32 v[30:31], v[30:31], v[34:35]
	v_pk_fma_f32 v[34:35], v[24:25], s[18:19], v[26:27] op_sel:[0,0,1] op_sel_hi:[1,0,0] neg_lo:[0,0,1] neg_hi:[0,0,1]
	v_pk_fma_f32 v[24:25], v[24:25], s[18:19], v[26:27] op_sel:[0,0,1] op_sel_hi:[1,0,0]
	v_mov_b32_e32 v26, v34
	v_mov_b32_e32 v27, v25
	v_pk_mul_f32 v[22:23], v[22:23], s[34:35] op_sel_hi:[1,0]
	v_pk_add_f32 v[26:27], v[26:27], v[30:31]
	v_pk_fma_f32 v[30:31], v[20:21], s[0:1], v[22:23] op_sel:[0,0,1] op_sel_hi:[1,0,0] neg_lo:[0,0,1] neg_hi:[0,0,1]
	v_pk_fma_f32 v[20:21], v[20:21], s[0:1], v[22:23] op_sel:[0,0,1] op_sel_hi:[1,0,0]
	v_mov_b32_e32 v22, v30
	v_mov_b32_e32 v23, v21
	v_pk_add_f32 v[22:23], v[22:23], v[26:27]
	v_pk_mul_f32 v[26:27], v[38:39], s[14:15] op_sel_hi:[1,0]
	v_mov_b32_e32 v33, v73
	v_pk_fma_f32 v[38:39], v[36:37], s[6:7], v[26:27] op_sel:[0,0,1] op_sel_hi:[1,0,0] neg_lo:[0,0,1] neg_hi:[0,0,1]
	v_pk_fma_f32 v[26:27], v[36:37], s[6:7], v[26:27] op_sel:[0,0,1] op_sel_hi:[1,0,0]
	v_mov_b32_e32 v36, v38
	v_mov_b32_e32 v37, v27
	v_pk_add_f32 v[22:23], v[36:37], v[22:23]
	v_mov_b32_e32 v3, v9
	v_mov_b32_e32 v5, v7
	ds_write2_b64 v78, v[48:49], v[22:23] offset0:4 offset1:5
	v_pk_add_f32 v[22:23], v[32:33], v[0:1]
	v_mov_b32_e32 v29, v75
	v_pk_add_f32 v[2:3], v[2:3], v[0:1]
	v_mov_b32_e32 v51, v59
	;; [unrolled: 2-line block ×12, first 2 shown]
	v_pk_add_f32 v[20:21], v[26:27], v[20:21]
	v_pk_add_f32 v[2:3], v[68:69], v[2:3]
	;; [unrolled: 1-line block ×3, first 2 shown]
	ds_write2_b64 v78, v[20:21], v[2:3] offset0:6 offset1:7
	ds_write2_b64 v78, v[0:1], v[40:41] offset0:8 offset1:9
	ds_write_b64 v78, v[56:57] offset:80
.LBB0_7:
	s_or_b64 exec, exec, s[16:17]
	s_movk_i32 s0, 0x75
	v_mul_lo_u16_sdwa v0, v52, s0 dst_sel:DWORD dst_unused:UNUSED_PAD src0_sel:BYTE_0 src1_sel:DWORD
	v_sub_u16_sdwa v1, v52, v0 dst_sel:DWORD dst_unused:UNUSED_PAD src0_sel:DWORD src1_sel:BYTE_1
	v_lshrrev_b16_e32 v1, 1, v1
	v_and_b32_e32 v1, 0x7f, v1
	v_add_u16_sdwa v0, v1, v0 dst_sel:DWORD dst_unused:UNUSED_PAD src0_sel:DWORD src1_sel:BYTE_1
	v_lshrrev_b16_e32 v32, 3, v0
	v_mul_lo_u16_e32 v0, 11, v32
	v_sub_u16_e32 v0, v52, v0
	v_and_b32_e32 v37, 0xff, v0
	v_lshlrev_b32_e32 v16, 6, v37
	s_load_dwordx4 s[4:7], s[2:3], 0x0
	s_waitcnt lgkmcnt(0)
	; wave barrier
	s_waitcnt lgkmcnt(0)
	global_load_dwordx4 v[8:11], v16, s[10:11] offset:16
	global_load_dwordx4 v[4:7], v16, s[10:11] offset:32
	global_load_dwordx4 v[12:15], v16, s[10:11]
	global_load_dwordx4 v[0:3], v16, s[10:11] offset:48
	v_add_u32_e32 v72, 0x400, v55
	v_add_u32_e32 v28, 0x800, v55
	ds_read2_b64 v[20:23], v55 offset0:110 offset1:165
	ds_read2_b64 v[16:19], v55 offset1:55
	ds_read_b64 v[34:35], v55 offset:3520
	ds_read2_b64 v[24:27], v72 offset0:92 offset1:147
	ds_read2_b64 v[28:31], v28 offset0:74 offset1:129
	v_mov_b32_e32 v33, 0x3f441b7d
	v_mul_u32_u24_e32 v32, 0x63, v32
	v_mov_b32_e32 v36, v33
	s_waitcnt lgkmcnt(3)
	v_mov_b32_e32 v42, v17
	s_waitcnt lgkmcnt(0)
	v_mov_b32_e32 v47, v28
	v_add_lshl_u32 v100, v32, v37, 3
	v_mov_b32_e32 v39, v17
	v_mov_b32_e32 v44, v23
	s_mov_b32 s16, 0x3eaf1d44
	s_mov_b32 s17, 0x3f5db3d7
	;; [unrolled: 1-line block ×3, first 2 shown]
	s_mov_b32 s19, -0.5
	s_mov_b32 s20, s19
	s_mov_b32 s21, s18
	;; [unrolled: 1-line block ×5, first 2 shown]
	s_waitcnt lgkmcnt(0)
	; wave barrier
	s_waitcnt vmcnt(3)
	v_mul_f32_e32 v45, v25, v11
	v_mul_f32_e32 v48, v25, v10
	s_waitcnt vmcnt(2)
	v_mul_f32_e32 v25, v27, v5
	s_waitcnt vmcnt(1)
	v_pk_mul_f32 v[62:63], v[18:19], v[12:13] op_sel:[0,1]
	v_mov_b32_e32 v46, v15
	s_waitcnt vmcnt(0)
	v_pk_mul_f32 v[64:65], v[30:31], v[0:1] op_sel:[0,1]
	v_mov_b32_e32 v66, v3
	v_mul_f32_e32 v60, v24, v11
	v_mul_f32_e32 v50, v27, v4
	;; [unrolled: 1-line block ×3, first 2 shown]
	v_fma_f32 v49, v24, v10, -v45
	v_fma_f32 v61, v26, v4, -v25
	v_pk_fma_f32 v[24:25], v[18:19], v[12:13], v[62:63] op_sel:[0,0,1] op_sel_hi:[1,1,0] neg_lo:[0,0,1] neg_hi:[0,0,1]
	v_pk_fma_f32 v[18:19], v[18:19], v[12:13], v[62:63] op_sel:[0,0,1] op_sel_hi:[1,0,0]
	v_pk_mul_f32 v[26:27], v[20:21], v[46:47] op_sel_hi:[1,0]
	v_pk_fma_f32 v[62:63], v[30:31], v[0:1], v[64:65] op_sel:[0,0,1] op_sel_hi:[1,1,0] neg_lo:[0,0,1] neg_hi:[0,0,1]
	v_pk_fma_f32 v[30:31], v[30:31], v[0:1], v[64:65] op_sel:[0,0,1] op_sel_hi:[1,0,0]
	v_pk_mul_f32 v[64:65], v[34:35], v[66:67] op_sel_hi:[1,0]
	v_mov_b32_e32 v25, v19
	v_pk_fma_f32 v[18:19], v[20:21], v[14:15], v[26:27] op_sel:[0,0,1] op_sel_hi:[1,1,0] neg_lo:[0,0,1] neg_hi:[0,0,1]
	v_pk_fma_f32 v[20:21], v[20:21], v[14:15], v[26:27] op_sel:[0,0,1] op_sel_hi:[1,0,0]
	v_pk_fma_f32 v[26:27], v[34:35], v[2:3], v[64:65] op_sel:[0,0,1] op_sel_hi:[1,1,0] neg_lo:[0,0,1] neg_hi:[0,0,1]
	v_pk_fma_f32 v[34:35], v[34:35], v[2:3], v[64:65] op_sel:[0,0,1] op_sel_hi:[1,0,0]
	v_mov_b32_e32 v63, v31
	v_mov_b32_e32 v19, v21
	;; [unrolled: 1-line block ×3, first 2 shown]
	v_sub_f32_e32 v73, v49, v61
	v_pk_add_f32 v[66:67], v[48:49], v[60:61]
	v_mov_b32_e32 v30, v49
	v_pk_add_f32 v[20:21], v[24:25], v[26:27]
	v_pk_add_f32 v[48:49], v[18:19], v[62:63]
	v_mov_b32_e32 v59, v20
	v_mov_b32_e32 v51, v48
	v_pk_add_f32 v[24:25], v[24:25], v[26:27] neg_lo:[0,1] neg_hi:[0,1]
	v_pk_add_f32 v[26:27], v[18:19], v[62:63] neg_lo:[0,1] neg_hi:[0,1]
	v_pk_add_f32 v[62:63], v[50:51], v[58:59]
	v_mul_f32_e32 v43, v29, v7
	v_mov_b32_e32 v37, v6
	v_mov_b32_e32 v46, v21
	v_pk_add_f32 v[34:35], v[66:67], v[62:63]
	v_mul_f32_e32 v23, v23, v9
	v_mul_f32_e32 v38, v22, v9
	;; [unrolled: 1-line block ×3, first 2 shown]
	v_mov_b32_e32 v32, v8
	v_mov_b32_e32 v45, v34
	v_pk_fma_f32 v[70:71], v[46:47], v[36:37], v[42:43]
	v_pk_fma_f32 v[36:37], v[46:47], v[36:37], v[42:43] neg_lo:[0,0,1] neg_hi:[0,0,1]
	v_fma_f32 v23, v22, v8, -v23
	v_fmac_f32_e32 v28, v29, v6
	v_mul_f32_e32 v29, 0x3e31d0d4, v21
	v_add_f32_e32 v19, v73, v24
	v_mul_f32_e32 v22, 0x3e31d0d4, v49
	v_mov_b32_e32 v71, v37
	v_pk_fma_f32 v[32:33], v[44:45], v[32:33], v[38:39]
	v_sub_f32_e32 v19, v19, v26
	v_mov_b32_e32 v51, v28
	v_sub_f32_e32 v36, v23, v37
	v_pk_add_f32 v[22:23], v[22:23], v[70:71]
	v_pk_add_f32 v[28:29], v[32:33], v[28:29]
	v_mul_f32_e32 v58, 0x3f5db3d7, v19
	v_pk_add_f32 v[64:65], v[48:49], v[20:21]
	v_fmamk_f32 v19, v20, 0x3f441b7d, v16
	v_mov_b32_e32 v38, v23
	v_mov_b32_e32 v39, v28
	;; [unrolled: 1-line block ×3, first 2 shown]
	v_fmac_f32_e32 v19, 0x3e31d0d4, v48
	v_pk_mul_f32 v[44:45], v[38:39], 0.5 op_sel_hi:[1,0]
	v_pk_add_f32 v[68:69], v[34:35], v[60:61]
	v_sub_f32_e32 v60, v19, v44
	v_fmamk_f32 v75, v67, 0x3f441b7d, v16
	v_mov_b32_e32 v50, v62
	v_mov_b32_e32 v46, v67
	v_fmac_f32_e32 v60, 0xbf708fb2, v67
	v_mov_b32_e32 v67, v32
	v_mov_b32_e32 v31, v66
	v_mul_f32_e32 v76, 0x3f248dbb, v25
	v_pk_add_f32 v[66:67], v[66:67], v[50:51] neg_lo:[0,1] neg_hi:[0,1]
	v_fmac_f32_e32 v76, 0x3f7c1c5c, v27
	v_pk_mul_f32 v[32:33], v[66:67], s[16:17]
	v_mul_f32_e32 v74, 0xbf248dbb, v73
	v_mul_f32_e32 v18, 0x3f248dbb, v24
	v_add_f32_e32 v43, v33, v76
	v_fmac_f32_e32 v74, 0x3f7c1c5c, v24
	v_fmac_f32_e32 v18, 0x3f7c1c5c, v26
	;; [unrolled: 1-line block ×3, first 2 shown]
	v_add_f32_e32 v51, v32, v43
	v_mov_b32_e32 v32, v45
	v_mov_b32_e32 v43, v16
	v_mul_f32_e32 v37, 0x3f5db3d7, v36
	v_fmac_f32_e32 v18, 0x3f5db3d7, v36
	v_fmamk_f32 v59, v36, 0xbf5db3d7, v74
	v_sub_f32_e32 v36, v75, v44
	v_mul_f32_e32 v50, 0xbf248dbb, v66
	v_pk_add_f32 v[44:45], v[22:23], v[32:33] neg_lo:[0,1] neg_hi:[0,1]
	v_pk_add_f32 v[22:23], v[22:23], v[42:43]
	v_pk_add_f32 v[42:43], v[28:29], v[42:43]
	v_pk_fma_f32 v[28:29], v[38:39], 0.5, v[28:29] op_sel_hi:[1,0,1] neg_lo:[1,0,0] neg_hi:[1,0,0]
	v_mov_b32_e32 v69, v49
	v_fmac_f32_e32 v50, 0x3f7c1c5c, v25
	v_mov_b32_e32 v43, v29
	v_sub_f32_e32 v32, v50, v33
	v_pk_fma_f32 v[28:29], v[68:69], s[20:21], v[42:43]
	v_mov_b32_e32 v67, v73
	s_mov_b32 s20, 0xbf7c1c5c
	v_fmac_f32_e32 v36, 0xbf708fb2, v48
	v_add_f32_e32 v19, v66, v25
	v_mov_b32_e32 v45, v23
	v_fmac_f32_e32 v32, 0x3eaf1d44, v27
	v_pk_mul_f32 v[42:43], v[66:67], s[20:21] op_sel_hi:[1,0]
	v_fmac_f32_e32 v59, 0x3eaf1d44, v26
	v_sub_f32_e32 v19, v19, v27
	v_pk_fma_f32 v[22:23], v[34:35], s[18:19], v[44:45]
	v_add_f32_e32 v44, v51, v60
	v_add_f32_e32 v60, v32, v36
	v_pk_fma_f32 v[26:27], v[26:27], s[2:3], v[42:43] op_sel:[1,0,0] op_sel_hi:[0,0,1]
	v_mov_b32_e32 v36, v33
	v_pk_add_f32 v[26:27], v[36:37], v[26:27]
	v_mov_b32_e32 v64, v63
	v_pk_fma_f32 v[24:25], v[24:25], s[16:17], v[26:27] op_sel:[1,0,0] op_sel_hi:[0,0,1]
	v_pk_add_f32 v[26:27], v[38:39], v[64:65]
	v_mov_b32_e32 v47, v34
	v_pk_add_f32 v[26:27], v[30:31], v[26:27]
	v_mov_b32_e32 v30, v61
	v_mov_b32_e32 v31, v62
	v_pk_add_f32 v[26:27], v[30:31], v[26:27]
	v_fmac_f32_e32 v18, 0x3eaf1d44, v73
	v_pk_add_f32 v[26:27], v[26:27], v[16:17]
	v_pk_fma_f32 v[16:17], v[48:49], s[0:1], v[16:17] op_sel_hi:[1,0,1]
	v_mul_f32_e32 v19, 0x3f5db3d7, v19
	v_pk_fma_f32 v[16:17], v[46:47], s[14:15], v[16:17] op_sel_hi:[1,0,1]
	v_pk_add_f32 v[70:71], v[22:23], v[18:19] neg_lo:[0,1] neg_hi:[0,1]
	v_pk_fma_f32 v[16:17], v[38:39], 0.5, v[16:17] op_sel_hi:[1,0,1] neg_lo:[1,0,0] neg_hi:[1,0,0]
	v_pk_add_f32 v[22:23], v[22:23], v[18:19]
	v_pk_fma_f32 v[16:17], v[20:21], s[18:19], v[16:17] op_sel_hi:[1,0,1]
	v_add_f32_e32 v37, v25, v25
	v_pk_add_f32 v[20:21], v[16:17], v[24:25]
	v_pk_add_f32 v[16:17], v[16:17], v[24:25] neg_lo:[0,1] neg_hi:[0,1]
	v_add_f32_e32 v24, v24, v24
	v_mov_b32_e32 v36, v20
	v_mov_b32_e32 v25, v17
	;; [unrolled: 1-line block ×3, first 2 shown]
	v_pk_add_f32 v[28:29], v[28:29], v[58:59] neg_lo:[0,1] neg_hi:[0,1]
	v_mov_b32_e32 v31, v17
	v_pk_add_f32 v[42:43], v[20:21], v[24:25] neg_lo:[0,1] neg_hi:[0,1]
	v_pk_add_f32 v[16:17], v[36:37], v[16:17]
	v_fma_f32 v34, -2.0, v51, v44
	v_pk_fma_f32 v[50:51], v[18:19], 2.0, v[70:71] op_sel_hi:[1,0,1]
	v_pk_fma_f32 v[18:19], v[18:19], 2.0, v[22:23] op_sel_hi:[1,0,1] neg_lo:[1,0,0] neg_hi:[1,0,0]
	v_pk_fma_f32 v[58:59], v[58:59], 2.0, v[28:29] op_sel_hi:[1,0,1]
	v_mov_b32_e32 v43, v17
	v_mov_b32_e32 v45, v70
	v_mov_b32_e32 v61, v29
	v_mov_b32_e32 v16, v23
	v_mov_b32_e32 v17, v28
	v_fma_f32 v32, -2.0, v32, v60
	v_mov_b32_e32 v30, v20
	ds_write2_b64 v100, v[26:27], v[44:45] offset1:11
	ds_write2_b64 v100, v[60:61], v[16:17] offset0:22 offset1:33
	ds_write2_b64 v100, v[30:31], v[42:43] offset0:44 offset1:55
	v_mov_b32_e32 v16, v19
	v_mov_b32_e32 v17, v58
	;; [unrolled: 1-line block ×4, first 2 shown]
	ds_write2_b64 v100, v[16:17], v[32:33] offset0:66 offset1:77
	ds_write_b64 v100, v[34:35] offset:704
	s_waitcnt lgkmcnt(0)
	; wave barrier
	s_waitcnt lgkmcnt(0)
	ds_read2_b64 v[36:39], v55 offset1:99
	ds_read2_b64 v[46:49], v72 offset0:70 offset1:169
	ds_read_b64 v[60:61], v55 offset:3168
	v_cmp_gt_u16_e64 s[0:1], 44, v52
	v_cmp_lt_u16_e64 s[2:3], 43, v52
	s_and_saveexec_b64 s[14:15], s[2:3]
	s_xor_b64 s[14:15], exec, s[14:15]
; %bb.8:
	v_mov_b32_e32 v51, v19
; %bb.9:
	s_andn2_saveexec_b64 s[14:15], s[14:15]
	s_cbranch_execz .LBB0_11
; %bb.10:
	ds_read2_b64 v[42:45], v55 offset0:55 offset1:154
	v_add_u32_e32 v16, 0x400, v55
	ds_read2_b64 v[32:35], v16 offset0:125 offset1:224
	ds_read_b64 v[40:41], v55 offset:3608
	s_waitcnt lgkmcnt(2)
	v_mov_b32_e32 v58, v45
	s_waitcnt lgkmcnt(1)
	v_mov_b32_e32 v59, v33
	v_mov_b32_e32 v50, v35
	;; [unrolled: 1-line block ×3, first 2 shown]
.LBB0_11:
	s_or_b64 exec, exec, s[14:15]
	s_movk_i32 s14, 0xffd4
	v_lshlrev_b32_e32 v16, 5, v52
	s_mov_b32 s15, -1
	global_load_dwordx4 v[24:27], v16, s[10:11] offset:704
	global_load_dwordx4 v[28:31], v16, s[10:11] offset:720
	v_lshl_add_u64 v[16:17], v[52:53], 0, 55
	v_lshl_add_u64 v[18:19], v[52:53], 0, s[14:15]
	v_cndmask_b32_e64 v17, v19, v17, s[0:1]
	v_cndmask_b32_e64 v16, v18, v16, s[0:1]
	v_lshlrev_b64 v[16:17], 5, v[16:17]
	v_lshl_add_u64 v[44:45], s[10:11], 0, v[16:17]
	global_load_dwordx4 v[20:23], v[44:45], off offset:704
	global_load_dwordx4 v[16:19], v[44:45], off offset:720
	s_mov_b32 s10, 0x3f737871
	s_mov_b32 s14, 0x3f167918
	;; [unrolled: 1-line block ×3, first 2 shown]
	v_add_u32_e32 v53, 0x400, v55
	s_waitcnt vmcnt(3)
	v_mov_b32_e32 v44, v27
	s_waitcnt vmcnt(2) lgkmcnt(1)
	v_pk_mul_f32 v[62:63], v[48:49], v[28:29] op_sel:[0,1]
	v_mov_b32_e32 v64, v31
	v_pk_mul_f32 v[66:67], v[38:39], v[24:25] op_sel_hi:[1,0]
	v_mov_b32_e32 v68, v25
	v_pk_mul_f32 v[44:45], v[46:47], v[44:45] op_sel_hi:[1,0]
	v_pk_fma_f32 v[70:71], v[48:49], v[28:29], v[62:63] op_sel:[0,0,1] op_sel_hi:[1,1,0] neg_lo:[0,0,1] neg_hi:[0,0,1]
	v_pk_fma_f32 v[48:49], v[48:49], v[28:29], v[62:63] op_sel:[0,0,1] op_sel_hi:[1,0,0]
	s_waitcnt lgkmcnt(0)
	v_pk_mul_f32 v[62:63], v[60:61], v[64:65] op_sel_hi:[1,0]
	v_pk_fma_f32 v[64:65], v[38:39], v[68:69], v[66:67] op_sel:[0,0,1] op_sel_hi:[1,1,0]
	v_pk_fma_f32 v[38:39], v[38:39], v[24:25], v[66:67] op_sel:[0,1,1] op_sel_hi:[1,1,0] neg_lo:[1,0,0] neg_hi:[1,0,0]
	v_pk_fma_f32 v[66:67], v[46:47], v[26:27], v[44:45] op_sel:[0,0,1] op_sel_hi:[1,1,0] neg_lo:[0,0,1] neg_hi:[0,0,1]
	v_pk_fma_f32 v[44:45], v[46:47], v[26:27], v[44:45] op_sel:[0,0,1] op_sel_hi:[1,0,0]
	v_mov_b32_e32 v71, v49
	v_pk_fma_f32 v[46:47], v[60:61], v[30:31], v[62:63] op_sel:[0,0,1] op_sel_hi:[1,1,0] neg_lo:[0,0,1] neg_hi:[0,0,1]
	v_pk_fma_f32 v[48:49], v[60:61], v[30:31], v[62:63] op_sel:[0,0,1] op_sel_hi:[1,0,0]
	v_mov_b32_e32 v65, v39
	v_mov_b32_e32 v38, v39
	;; [unrolled: 1-line block ×7, first 2 shown]
	v_pk_add_f32 v[48:49], v[36:37], v[38:39]
	s_waitcnt vmcnt(1)
	v_pk_mul_f32 v[62:63], v[58:59], v[20:21] op_sel_hi:[0,1]
	v_pk_mul_f32 v[58:59], v[58:59], v[22:23] op_sel:[1,0]
	s_waitcnt vmcnt(0)
	v_pk_mul_f32 v[68:69], v[50:51], v[16:17] op_sel_hi:[0,1]
	v_pk_mul_f32 v[72:73], v[40:41], v[18:19] op_sel:[1,0]
	v_pk_add_f32 v[74:75], v[66:67], v[70:71]
	v_pk_add_f32 v[44:45], v[64:65], v[44:45] neg_lo:[0,1] neg_hi:[0,1]
	v_pk_add_f32 v[48:49], v[48:49], v[66:67]
	v_pk_add_f32 v[64:65], v[38:39], v[66:67] neg_lo:[0,1] neg_hi:[0,1]
	v_pk_add_f32 v[78:79], v[66:67], v[38:39] neg_lo:[0,1] neg_hi:[0,1]
	;; [unrolled: 1-line block ×3, first 2 shown]
	v_pk_add_f32 v[38:39], v[38:39], v[46:47]
	v_pk_fma_f32 v[80:81], v[50:51], v[20:21], v[62:63] op_sel:[1,0,1] op_sel_hi:[1,1,0] neg_lo:[0,0,1] neg_hi:[0,0,1]
	v_pk_fma_f32 v[50:51], v[50:51], v[20:21], v[62:63] op_sel:[1,0,1] op_sel_hi:[1,1,0]
	v_pk_fma_f32 v[62:63], v[32:33], v[22:23], v[58:59] op_sel:[0,0,1] op_sel_hi:[1,1,0] neg_lo:[0,0,1] neg_hi:[0,0,1]
	v_pk_fma_f32 v[32:33], v[32:33], v[22:23], v[58:59] op_sel:[0,0,1] op_sel_hi:[0,1,0]
	;; [unrolled: 2-line block ×4, first 2 shown]
	v_pk_fma_f32 v[72:73], v[74:75], 0.5, v[36:37] op_sel_hi:[1,0,1] neg_lo:[1,0,0] neg_hi:[1,0,0]
	v_pk_add_f32 v[48:49], v[48:49], v[70:71]
	v_pk_mul_f32 v[74:75], v[66:67], s[10:11] op_sel_hi:[1,0]
	v_pk_fma_f32 v[36:37], v[38:39], 0.5, v[36:37] op_sel_hi:[1,0,1] neg_lo:[1,0,0] neg_hi:[1,0,0]
	v_pk_add_f32 v[60:61], v[46:47], v[70:71] neg_lo:[0,1] neg_hi:[0,1]
	v_pk_add_f32 v[76:77], v[70:71], v[46:47] neg_lo:[0,1] neg_hi:[0,1]
	v_pk_mul_f32 v[66:67], v[66:67], s[14:15] op_sel_hi:[1,0]
	v_mov_b32_e32 v63, v33
	v_mov_b32_e32 v59, v35
	;; [unrolled: 1-line block ×3, first 2 shown]
	v_pk_fma_f32 v[34:35], v[44:45], s[10:11], v[72:73] op_sel_hi:[1,0,1] neg_lo:[1,0,0] neg_hi:[1,0,0]
	v_pk_add_f32 v[32:33], v[48:49], v[46:47]
	v_pk_fma_f32 v[40:41], v[44:45], s[10:11], v[72:73] op_sel_hi:[1,0,1]
	v_pk_add_f32 v[46:47], v[36:37], v[74:75] op_sel:[0,1] op_sel_hi:[1,0] neg_lo:[0,1] neg_hi:[0,1]
	v_pk_add_f32 v[36:37], v[74:75], v[36:37] op_sel:[1,0] op_sel_hi:[0,1]
	v_pk_fma_f32 v[36:37], v[44:45], s[14:15], v[36:37] op_sel_hi:[1,0,1] neg_lo:[1,0,0] neg_hi:[1,0,0]
	v_pk_fma_f32 v[44:45], v[44:45], s[14:15], v[46:47] op_sel_hi:[1,0,1]
	v_pk_add_f32 v[46:47], v[34:35], v[66:67] op_sel:[0,1] op_sel_hi:[1,0] neg_lo:[0,1] neg_hi:[0,1]
	v_pk_add_f32 v[34:35], v[40:41], v[66:67] op_sel:[0,1] op_sel_hi:[1,0]
	v_pk_add_f32 v[38:39], v[64:65], v[60:61]
	v_mov_b32_e32 v40, v34
	v_mov_b32_e32 v41, v47
	;; [unrolled: 1-line block ×3, first 2 shown]
	v_pk_add_f32 v[70:71], v[78:79], v[76:77]
	v_mov_b32_e32 v81, v51
	v_mov_b32_e32 v48, v36
	;; [unrolled: 1-line block ×3, first 2 shown]
	v_pk_fma_f32 v[34:35], v[38:39], s[16:17], v[40:41] op_sel_hi:[1,0,1]
	v_pk_fma_f32 v[40:41], v[38:39], s[16:17], v[46:47] op_sel_hi:[1,0,1]
	v_pk_add_f32 v[46:47], v[62:63], v[58:59]
	v_pk_fma_f32 v[38:39], v[70:71], s[16:17], v[48:49] op_sel_hi:[1,0,1]
	v_pk_fma_f32 v[46:47], v[46:47], 0.5, v[42:43] op_sel_hi:[1,0,1] neg_lo:[1,0,0] neg_hi:[1,0,0]
	v_pk_add_f32 v[48:49], v[80:81], v[68:69] neg_lo:[0,1] neg_hi:[0,1]
	v_pk_add_f32 v[60:61], v[62:63], v[58:59] neg_lo:[0,1] neg_hi:[0,1]
	v_pk_fma_f32 v[50:51], v[48:49], s[10:11], v[46:47] op_sel:[1,0,0] op_sel_hi:[0,0,1]
	v_pk_fma_f32 v[46:47], v[48:49], s[10:11], v[46:47] op_sel:[1,0,0] op_sel_hi:[0,0,1] neg_lo:[1,0,0] neg_hi:[1,0,0]
	v_pk_fma_f32 v[46:47], v[60:61], s[14:15], v[46:47] op_sel:[1,0,0] op_sel_hi:[0,0,1] neg_lo:[1,0,0] neg_hi:[1,0,0]
	v_pk_fma_f32 v[50:51], v[60:61], s[14:15], v[50:51] op_sel:[1,0,0] op_sel_hi:[0,0,1]
	v_mov_b32_e32 v45, v37
	v_mov_b32_e32 v64, v50
	;; [unrolled: 1-line block ×4, first 2 shown]
	v_pk_add_f32 v[50:51], v[80:81], v[68:69]
	v_pk_fma_f32 v[36:37], v[70:71], s[16:17], v[44:45] op_sel_hi:[1,0,1]
	v_pk_add_f32 v[44:45], v[42:43], v[80:81]
	v_pk_fma_f32 v[42:43], v[50:51], 0.5, v[42:43] op_sel_hi:[1,0,1] neg_lo:[1,0,0] neg_hi:[1,0,0]
	v_pk_add_f32 v[44:45], v[44:45], v[62:63]
	v_pk_fma_f32 v[50:51], v[60:61], s[10:11], v[42:43] op_sel:[1,0,0] op_sel_hi:[0,0,1] neg_lo:[1,0,0] neg_hi:[1,0,0]
	v_pk_fma_f32 v[42:43], v[60:61], s[10:11], v[42:43] op_sel:[1,0,0] op_sel_hi:[0,0,1]
	v_pk_add_f32 v[44:45], v[44:45], v[58:59]
	v_pk_add_f32 v[66:67], v[80:81], v[62:63] neg_lo:[0,1] neg_hi:[0,1]
	v_pk_add_f32 v[70:71], v[68:69], v[58:59] neg_lo:[0,1] neg_hi:[0,1]
	v_pk_fma_f32 v[60:61], v[48:49], s[14:15], v[42:43] op_sel:[1,0,0] op_sel_hi:[0,0,1] neg_lo:[1,0,0] neg_hi:[1,0,0]
	v_pk_fma_f32 v[42:43], v[48:49], s[14:15], v[50:51] op_sel:[1,0,0] op_sel_hi:[0,0,1]
	v_pk_add_f32 v[50:51], v[62:63], v[80:81] neg_lo:[0,1] neg_hi:[0,1]
	v_pk_add_f32 v[58:59], v[58:59], v[68:69] neg_lo:[0,1] neg_hi:[0,1]
	v_pk_add_f32 v[66:67], v[66:67], v[70:71]
	v_mov_b32_e32 v48, v42
	v_mov_b32_e32 v49, v61
	v_pk_add_f32 v[58:59], v[50:51], v[58:59]
	v_mov_b32_e32 v61, v43
	v_pk_add_f32 v[42:43], v[44:45], v[68:69]
	v_pk_fma_f32 v[44:45], v[66:67], s[16:17], v[64:65] op_sel_hi:[1,0,1]
	v_pk_fma_f32 v[50:51], v[66:67], s[16:17], v[46:47] op_sel_hi:[1,0,1]
	;; [unrolled: 1-line block ×4, first 2 shown]
	ds_write2_b64 v55, v[32:33], v[34:35] offset1:99
	ds_write2_b64 v53, v[36:37], v[38:39] offset0:70 offset1:169
	ds_write_b64 v55, v[40:41] offset:3168
	s_and_saveexec_b64 s[10:11], s[0:1]
	s_cbranch_execz .LBB0_13
; %bb.12:
	ds_write2_b64 v55, v[42:43], v[44:45] offset0:55 offset1:154
	ds_write2_b64 v53, v[46:47], v[48:49] offset0:125 offset1:224
	ds_write_b64 v55, v[50:51] offset:3608
.LBB0_13:
	s_or_b64 exec, exec, s[10:11]
	s_waitcnt lgkmcnt(0)
	; wave barrier
	s_waitcnt lgkmcnt(0)
	s_and_saveexec_b64 s[10:11], vcc
	s_cbranch_execz .LBB0_15
; %bb.14:
	global_load_dwordx2 v[58:59], v55, s[8:9] offset:3960
	s_add_u32 s14, s8, 0xf78
	s_addc_u32 s15, s9, 0
	global_load_dwordx2 v[78:79], v55, s[14:15] offset:360
	global_load_dwordx2 v[80:81], v55, s[14:15] offset:720
	;; [unrolled: 1-line block ×10, first 2 shown]
	ds_read_b64 v[60:61], v55
	v_add_u32_e32 v53, 0x400, v55
	v_add_u32_e32 v102, 0x800, v55
	s_waitcnt vmcnt(10) lgkmcnt(0)
	v_mul_f32_e32 v62, v61, v59
	v_mul_f32_e32 v63, v60, v59
	v_fma_f32 v62, v60, v58, -v62
	v_fmac_f32_e32 v63, v61, v58
	ds_write_b64 v55, v[62:63]
	ds_read2_b64 v[58:61], v55 offset0:45 offset1:90
	ds_read2_b64 v[62:65], v55 offset0:135 offset1:180
	;; [unrolled: 1-line block ×5, first 2 shown]
	s_waitcnt vmcnt(9) lgkmcnt(4)
	v_mul_f32_e32 v98, v59, v79
	v_mul_f32_e32 v99, v58, v79
	s_waitcnt vmcnt(8)
	v_mul_f32_e32 v103, v61, v81
	v_mul_f32_e32 v79, v60, v81
	s_waitcnt vmcnt(7) lgkmcnt(3)
	v_mul_f32_e32 v104, v63, v83
	v_mul_f32_e32 v81, v62, v83
	s_waitcnt vmcnt(6)
	v_mul_f32_e32 v105, v65, v85
	v_mul_f32_e32 v83, v64, v85
	;; [unrolled: 6-line block ×5, first 2 shown]
	v_fma_f32 v98, v58, v78, -v98
	v_fmac_f32_e32 v99, v59, v78
	v_fma_f32 v78, v60, v80, -v103
	v_fmac_f32_e32 v79, v61, v80
	;; [unrolled: 2-line block ×10, first 2 shown]
	ds_write2_b64 v55, v[98:99], v[78:79] offset0:45 offset1:90
	ds_write2_b64 v55, v[80:81], v[82:83] offset0:135 offset1:180
	ds_write2_b64 v53, v[84:85], v[86:87] offset0:97 offset1:142
	ds_write2_b64 v102, v[88:89], v[90:91] offset0:59 offset1:104
	ds_write2_b64 v102, v[92:93], v[94:95] offset0:149 offset1:194
.LBB0_15:
	s_or_b64 exec, exec, s[10:11]
	s_waitcnt lgkmcnt(0)
	; wave barrier
	s_waitcnt lgkmcnt(0)
	s_and_saveexec_b64 s[10:11], vcc
	s_cbranch_execz .LBB0_17
; %bb.16:
	v_add_u32_e32 v48, 0x800, v55
	ds_read2_b64 v[32:35], v55 offset1:45
	ds_read2_b64 v[36:39], v55 offset0:90 offset1:135
	ds_read2_b64 v[40:43], v55 offset0:180 offset1:225
	;; [unrolled: 1-line block ×4, first 2 shown]
	ds_read_b64 v[56:57], v55 offset:3600
.LBB0_17:
	s_or_b64 exec, exec, s[10:11]
	s_waitcnt lgkmcnt(0)
	v_pk_add_f32 v[58:59], v[34:35], v[56:57] neg_lo:[0,1] neg_hi:[0,1]
	v_pk_add_f32 v[78:79], v[34:35], v[56:57]
	v_mov_b32_e32 v61, v58
	v_mov_b32_e32 v60, v78
	v_mov_b32_e32 v78, v59
	v_pk_add_f32 v[58:59], v[36:37], v[50:51] neg_lo:[0,1] neg_hi:[0,1]
	v_pk_add_f32 v[76:77], v[36:37], v[50:51]
	v_mov_b32_e32 v63, v58
	v_mov_b32_e32 v62, v76
	v_mov_b32_e32 v76, v59
	;; [unrolled: 5-line block ×3, first 2 shown]
	v_pk_add_f32 v[58:59], v[40:41], v[46:47] neg_lo:[0,1] neg_hi:[0,1]
	v_pk_add_f32 v[72:73], v[40:41], v[46:47]
	s_mov_b32 s25, 0x3ed4b147
	s_mov_b32 s24, 0xbf68dda4
	;; [unrolled: 1-line block ×3, first 2 shown]
	v_mov_b32_e32 v66, v72
	v_mov_b32_e32 v67, v58
	;; [unrolled: 1-line block ×3, first 2 shown]
	v_pk_add_f32 v[58:59], v[42:43], v[44:45] neg_lo:[0,1] neg_hi:[0,1]
	v_pk_add_f32 v[70:71], v[42:43], v[44:45]
	v_pk_mul_f32 v[80:81], v[78:79], s[24:25]
	s_mov_b32 s10, s25
	s_mov_b32 s11, s24
	;; [unrolled: 1-line block ×3, first 2 shown]
	v_mov_b32_e32 v68, v70
	v_mov_b32_e32 v69, v58
	;; [unrolled: 1-line block ×3, first 2 shown]
	v_pk_fma_f32 v[58:59], v[60:61], s[10:11], v[80:81] neg_lo:[0,0,1] neg_hi:[0,0,1]
	v_pk_fma_f32 v[82:83], v[60:61], s[10:11], v[80:81]
	v_pk_mul_f32 v[84:85], v[76:77], s[30:31]
	s_mov_b32 s14, s31
	s_mov_b32 s15, s30
	v_mov_b32_e32 v59, v83
	v_pk_fma_f32 v[88:89], v[62:63], s[14:15], v[84:85] neg_lo:[0,0,1] neg_hi:[0,0,1]
	v_pk_fma_f32 v[86:87], v[62:63], s[14:15], v[84:85]
	s_mov_b32 s40, 0x3e903f40
	v_pk_add_f32 v[58:59], v[32:33], v[58:59]
	v_mov_b32_e32 v89, v87
	s_mov_b32 s41, 0xbf75a155
	v_pk_add_f32 v[58:59], v[88:89], v[58:59]
	v_pk_mul_f32 v[88:89], v[74:75], s[40:41]
	s_mov_b32 s18, s41
	s_mov_b32 s19, s40
	v_pk_fma_f32 v[92:93], v[64:65], s[18:19], v[88:89] neg_lo:[0,0,1] neg_hi:[0,0,1]
	v_pk_fma_f32 v[90:91], v[64:65], s[18:19], v[88:89]
	s_mov_b32 s38, 0x3f7d64f0
	v_mov_b32_e32 v93, v91
	s_mov_b32 s39, 0xbe11bafb
	v_pk_add_f32 v[58:59], v[92:93], v[58:59]
	v_pk_mul_f32 v[92:93], v[72:73], s[38:39]
	s_mov_b32 s22, s39
	s_mov_b32 s23, s38
	v_pk_fma_f32 v[96:97], v[66:67], s[22:23], v[92:93] neg_lo:[0,0,1] neg_hi:[0,0,1]
	v_pk_fma_f32 v[94:95], v[66:67], s[22:23], v[92:93]
	s_mov_b32 s36, 0x3f0a6770
	v_mov_b32_e32 v97, v95
	s_mov_b32 s37, 0x3f575c64
	v_pk_add_f32 v[58:59], v[96:97], v[58:59]
	v_pk_mul_f32 v[96:97], v[70:71], s[36:37]
	s_mov_b32 s34, s37
	s_mov_b32 s35, s36
	v_pk_fma_f32 v[102:103], v[68:69], s[34:35], v[96:97] neg_lo:[0,0,1] neg_hi:[0,0,1]
	v_pk_fma_f32 v[98:99], v[68:69], s[34:35], v[96:97]
	s_nop 0
	v_mov_b32_e32 v103, v99
	v_pk_add_f32 v[58:59], v[102:103], v[58:59]
	; wave barrier
	s_and_saveexec_b64 s[16:17], vcc
	s_cbranch_execz .LBB0_19
; %bb.18:
	v_pk_add_f32 v[34:35], v[34:35], v[32:33]
	s_mov_b32 s21, 0xbf0a6770
	v_pk_add_f32 v[34:35], v[36:37], v[34:35]
	s_mov_b32 s44, s21
	;; [unrolled: 2-line block ×4, first 2 shown]
	v_pk_add_f32 v[34:35], v[42:43], v[34:35]
	v_pk_mul_f32 v[36:37], v[78:79], s[44:45]
	v_pk_add_f32 v[34:35], v[44:45], v[34:35]
	v_pk_fma_f32 v[38:39], v[60:61], s[20:21], v[36:37] neg_lo:[1,0,0] neg_hi:[1,0,0]
	v_pk_add_f32 v[34:35], v[46:47], v[34:35]
	v_pk_mul_f32 v[44:45], v[76:77], s[24:25]
	v_pk_add_f32 v[34:35], v[48:49], v[34:35]
	v_pk_fma_f32 v[46:47], v[62:63], s[10:11], v[44:45] neg_lo:[1,0,0] neg_hi:[1,0,0]
	v_pk_add_f32 v[34:35], v[50:51], v[34:35]
	s_mov_b32 s27, 0xbf7d64f0
	v_pk_add_f32 v[40:41], v[56:57], v[34:35]
	v_pk_fma_f32 v[34:35], v[60:61], s[20:21], v[36:37]
	s_mov_b32 s42, s27
	v_mov_b32_e32 v38, v34
	v_pk_add_f32 v[42:43], v[32:33], v[38:39]
	v_pk_fma_f32 v[38:39], v[62:63], s[10:11], v[44:45]
	s_mov_b32 s43, s39
	v_mov_b32_e32 v46, v38
	v_pk_add_f32 v[42:43], v[46:47], v[42:43]
	s_mov_b32 s26, s39
	v_pk_mul_f32 v[46:47], v[74:75], s[42:43]
	s_mov_b32 s29, 0xbe903f40
	v_pk_fma_f32 v[48:49], v[64:65], s[26:27], v[46:47]
	v_pk_fma_f32 v[50:51], v[64:65], s[26:27], v[46:47] neg_lo:[1,0,0] neg_hi:[1,0,0]
	s_mov_b32 s46, s29
	v_mov_b32_e32 v50, v48
	v_pk_add_f32 v[42:43], v[50:51], v[42:43]
	v_pk_mul_f32 v[50:51], v[72:73], s[30:31]
	s_mov_b32 s47, s41
	v_pk_fma_f32 v[56:57], v[66:67], s[14:15], v[50:51]
	v_pk_fma_f32 v[112:113], v[66:67], s[14:15], v[50:51] neg_lo:[1,0,0] neg_hi:[1,0,0]
	s_mov_b32 s28, s41
	v_mov_b32_e32 v112, v56
	v_pk_add_f32 v[42:43], v[112:113], v[42:43]
	v_pk_mul_f32 v[112:113], v[70:71], s[46:47]
	v_pk_mul_f32 v[104:105], v[62:63], s[14:15]
	v_pk_fma_f32 v[114:115], v[68:69], s[28:29], v[112:113]
	v_pk_fma_f32 v[116:117], v[68:69], s[28:29], v[112:113] neg_lo:[1,0,0] neg_hi:[1,0,0]
	v_lshlrev_b32_e32 v53, 3, v101
	v_mov_b32_e32 v116, v114
	v_pk_add_f32 v[42:43], v[116:117], v[42:43]
	v_pk_mul_f32 v[106:107], v[64:65], s[18:19]
	ds_write2_b64 v53, v[40:41], v[42:43] offset1:1
	v_pk_add_f32 v[42:43], v[84:85], v[104:105] neg_lo:[0,1] neg_hi:[0,1]
	v_pk_mul_f32 v[108:109], v[66:67], s[22:23]
	v_mov_b32_e32 v87, v43
	v_pk_add_f32 v[42:43], v[88:89], v[106:107] neg_lo:[0,1] neg_hi:[0,1]
	v_pk_mul_f32 v[102:103], v[60:61], s[10:11]
	v_pk_mul_f32 v[110:111], v[68:69], s[34:35]
	v_mov_b32_e32 v91, v43
	v_pk_add_f32 v[42:43], v[92:93], v[108:109] neg_lo:[0,1] neg_hi:[0,1]
	v_pk_add_f32 v[40:41], v[80:81], v[102:103] neg_lo:[0,1] neg_hi:[0,1]
	v_mov_b32_e32 v95, v43
	v_pk_add_f32 v[42:43], v[96:97], v[110:111] neg_lo:[0,1] neg_hi:[0,1]
	v_mov_b32_e32 v83, v41
	v_mov_b32_e32 v99, v43
	v_pk_mul_f32 v[42:43], v[78:79], s[42:43]
	v_pk_add_f32 v[40:41], v[32:33], v[82:83]
	v_pk_fma_f32 v[80:81], v[60:61], s[26:27], v[42:43]
	v_pk_fma_f32 v[82:83], v[60:61], s[26:27], v[42:43] neg_lo:[1,0,0] neg_hi:[1,0,0]
	v_pk_mul_f32 v[84:85], v[76:77], s[40:41]
	v_pk_add_f32 v[40:41], v[86:87], v[40:41]
	v_mov_b32_e32 v82, v80
	v_pk_fma_f32 v[86:87], v[62:63], s[18:19], v[84:85]
	v_pk_fma_f32 v[88:89], v[62:63], s[18:19], v[84:85] neg_lo:[1,0,0] neg_hi:[1,0,0]
	s_mov_b32 s41, 0x3f68dda4
	v_pk_add_f32 v[82:83], v[32:33], v[82:83]
	v_mov_b32_e32 v88, v86
	s_mov_b32 s24, s41
	v_pk_add_f32 v[82:83], v[88:89], v[82:83]
	s_mov_b32 s40, s25
	v_pk_mul_f32 v[88:89], v[74:75], s[24:25]
	v_pk_add_f32 v[40:41], v[90:91], v[40:41]
	v_pk_fma_f32 v[90:91], v[64:65], s[40:41], v[88:89]
	v_pk_fma_f32 v[92:93], v[64:65], s[40:41], v[88:89] neg_lo:[1,0,0] neg_hi:[1,0,0]
	v_pk_add_f32 v[40:41], v[94:95], v[40:41]
	v_mov_b32_e32 v92, v90
	v_pk_add_f32 v[82:83], v[92:93], v[82:83]
	v_pk_mul_f32 v[92:93], v[72:73], s[44:45]
	v_pk_add_f32 v[40:41], v[98:99], v[40:41]
	v_pk_fma_f32 v[94:95], v[66:67], s[20:21], v[92:93]
	v_pk_fma_f32 v[96:97], v[66:67], s[20:21], v[92:93] neg_lo:[1,0,0] neg_hi:[1,0,0]
	v_pk_mul_f32 v[104:105], v[76:77], s[38:39]
	v_mov_b32_e32 v96, v94
	v_pk_add_f32 v[82:83], v[96:97], v[82:83]
	v_pk_mul_f32 v[96:97], v[70:71], s[30:31]
	v_pk_fma_f32 v[106:107], v[62:63], s[22:23], v[104:105]
	v_pk_fma_f32 v[98:99], v[68:69], s[14:15], v[96:97]
	v_pk_fma_f32 v[102:103], v[68:69], s[14:15], v[96:97] neg_lo:[1,0,0] neg_hi:[1,0,0]
	v_pk_fma_f32 v[108:109], v[62:63], s[22:23], v[104:105] neg_lo:[1,0,0] neg_hi:[1,0,0]
	v_mov_b32_e32 v102, v98
	v_pk_add_f32 v[82:83], v[102:103], v[82:83]
	ds_write2_b64 v53, v[40:41], v[82:83] offset0:2 offset1:3
	v_pk_mul_f32 v[40:41], v[78:79], s[30:31]
	v_mov_b32_e32 v108, v106
	v_pk_fma_f32 v[82:83], v[60:61], s[14:15], v[40:41]
	v_pk_fma_f32 v[102:103], v[60:61], s[14:15], v[40:41] neg_lo:[1,0,0] neg_hi:[1,0,0]
	v_pk_mul_f32 v[78:79], v[78:79], s[46:47]
	v_mov_b32_e32 v102, v82
	v_pk_add_f32 v[102:103], v[32:33], v[102:103]
	v_pk_fma_f32 v[126:127], v[60:61], s[28:29], v[78:79] neg_lo:[1,0,0] neg_hi:[1,0,0]
	v_pk_add_f32 v[102:103], v[108:109], v[102:103]
	v_pk_mul_f32 v[108:109], v[74:75], s[44:45]
	v_pk_mul_f32 v[76:77], v[76:77], s[36:37]
	v_pk_fma_f32 v[110:111], v[64:65], s[20:21], v[108:109]
	v_pk_fma_f32 v[116:117], v[64:65], s[20:21], v[108:109] neg_lo:[1,0,0] neg_hi:[1,0,0]
	v_pk_fma_f32 v[128:129], v[62:63], s[34:35], v[76:77]
	v_mov_b32_e32 v116, v110
	v_pk_add_f32 v[102:103], v[116:117], v[102:103]
	v_pk_mul_f32 v[116:117], v[72:73], s[46:47]
	v_pk_fma_f32 v[130:131], v[62:63], s[34:35], v[76:77] neg_lo:[1,0,0] neg_hi:[1,0,0]
	v_pk_fma_f32 v[118:119], v[66:67], s[28:29], v[116:117]
	v_pk_fma_f32 v[120:121], v[66:67], s[28:29], v[116:117] neg_lo:[1,0,0] neg_hi:[1,0,0]
	v_mov_b32_e32 v130, v128
	v_mov_b32_e32 v120, v118
	v_pk_add_f32 v[102:103], v[120:121], v[102:103]
	v_pk_mul_f32 v[120:121], v[70:71], s[24:25]
	v_pk_mul_f32 v[74:75], v[74:75], s[30:31]
	v_pk_fma_f32 v[122:123], v[68:69], s[40:41], v[120:121]
	v_pk_fma_f32 v[124:125], v[68:69], s[40:41], v[120:121] neg_lo:[1,0,0] neg_hi:[1,0,0]
	v_pk_fma_f32 v[132:133], v[64:65], s[14:15], v[74:75] neg_lo:[1,0,0] neg_hi:[1,0,0]
	v_mov_b32_e32 v124, v122
	v_pk_add_f32 v[102:103], v[124:125], v[102:103]
	v_pk_fma_f32 v[124:125], v[60:61], s[28:29], v[78:79]
	v_pk_fma_f32 v[78:79], v[60:61], s[28:29], v[78:79] neg_lo:[0,0,1] neg_hi:[0,0,1]
	v_mov_b32_e32 v126, v124
	v_pk_add_f32 v[126:127], v[32:33], v[126:127]
	v_pk_mul_f32 v[72:73], v[72:73], s[24:25]
	v_pk_add_f32 v[126:127], v[130:131], v[126:127]
	v_pk_fma_f32 v[130:131], v[64:65], s[14:15], v[74:75]
	v_mov_b32_e32 v79, v125
	v_mov_b32_e32 v132, v130
	v_pk_fma_f32 v[76:77], v[62:63], s[34:35], v[76:77] neg_lo:[0,0,1] neg_hi:[0,0,1]
	v_pk_add_f32 v[126:127], v[132:133], v[126:127]
	v_pk_fma_f32 v[132:133], v[66:67], s[40:41], v[72:73]
	v_pk_fma_f32 v[134:135], v[66:67], s[40:41], v[72:73] neg_lo:[1,0,0] neg_hi:[1,0,0]
	v_pk_add_f32 v[78:79], v[32:33], v[78:79]
	v_mov_b32_e32 v77, v129
	v_pk_fma_f32 v[74:75], v[64:65], s[14:15], v[74:75] neg_lo:[0,0,1] neg_hi:[0,0,1]
	v_mov_b32_e32 v134, v132
	v_pk_mul_f32 v[70:71], v[70:71], s[42:43]
	v_pk_add_f32 v[76:77], v[76:77], v[78:79]
	v_mov_b32_e32 v75, v131
	v_pk_fma_f32 v[72:73], v[66:67], s[40:41], v[72:73] neg_lo:[0,0,1] neg_hi:[0,0,1]
	v_pk_add_f32 v[126:127], v[134:135], v[126:127]
	v_pk_fma_f32 v[134:135], v[68:69], s[26:27], v[70:71]
	v_pk_fma_f32 v[136:137], v[68:69], s[26:27], v[70:71] neg_lo:[1,0,0] neg_hi:[1,0,0]
	v_pk_add_f32 v[74:75], v[74:75], v[76:77]
	v_mov_b32_e32 v73, v133
	v_pk_fma_f32 v[70:71], v[68:69], s[26:27], v[70:71] neg_lo:[0,0,1] neg_hi:[0,0,1]
	v_pk_add_f32 v[72:73], v[72:73], v[74:75]
	v_mov_b32_e32 v71, v135
	;; [unrolled: 3-line block ×4, first 2 shown]
	v_pk_add_f32 v[40:41], v[72:73], v[40:41]
	v_pk_fma_f32 v[72:73], v[64:65], s[20:21], v[108:109] neg_lo:[0,0,1] neg_hi:[0,0,1]
	v_pk_fma_f32 v[36:37], v[60:61], s[20:21], v[36:37] neg_lo:[0,0,1] neg_hi:[0,0,1]
	v_mov_b32_e32 v73, v111
	v_pk_add_f32 v[40:41], v[72:73], v[40:41]
	v_pk_fma_f32 v[72:73], v[66:67], s[28:29], v[116:117] neg_lo:[0,0,1] neg_hi:[0,0,1]
	v_mov_b32_e32 v37, v35
	v_mov_b32_e32 v73, v119
	v_pk_add_f32 v[40:41], v[72:73], v[40:41]
	v_pk_fma_f32 v[72:73], v[68:69], s[40:41], v[120:121] neg_lo:[0,0,1] neg_hi:[0,0,1]
	v_pk_fma_f32 v[34:35], v[62:63], s[10:11], v[44:45] neg_lo:[0,0,1] neg_hi:[0,0,1]
	v_mov_b32_e32 v73, v123
	v_pk_add_f32 v[40:41], v[72:73], v[40:41]
	ds_write2_b64 v53, v[70:71], v[40:41] offset0:6 offset1:7
	v_pk_fma_f32 v[40:41], v[60:61], s[26:27], v[42:43] neg_lo:[0,0,1] neg_hi:[0,0,1]
	v_pk_fma_f32 v[42:43], v[62:63], s[18:19], v[84:85] neg_lo:[0,0,1] neg_hi:[0,0,1]
	v_mov_b32_e32 v41, v81
	v_pk_add_f32 v[40:41], v[32:33], v[40:41]
	v_mov_b32_e32 v43, v87
	v_pk_add_f32 v[32:33], v[32:33], v[36:37]
	v_mov_b32_e32 v35, v39
	v_pk_add_f32 v[40:41], v[42:43], v[40:41]
	v_pk_fma_f32 v[42:43], v[64:65], s[40:41], v[88:89] neg_lo:[0,0,1] neg_hi:[0,0,1]
	v_pk_add_f32 v[32:33], v[34:35], v[32:33]
	v_pk_fma_f32 v[34:35], v[64:65], s[26:27], v[46:47] neg_lo:[0,0,1] neg_hi:[0,0,1]
	v_mov_b32_e32 v43, v91
	v_mov_b32_e32 v35, v49
	v_pk_add_f32 v[40:41], v[42:43], v[40:41]
	v_pk_fma_f32 v[42:43], v[66:67], s[20:21], v[92:93] neg_lo:[0,0,1] neg_hi:[0,0,1]
	v_pk_add_f32 v[32:33], v[34:35], v[32:33]
	v_pk_fma_f32 v[34:35], v[66:67], s[14:15], v[50:51] neg_lo:[0,0,1] neg_hi:[0,0,1]
	v_mov_b32_e32 v43, v95
	v_mov_b32_e32 v35, v57
	v_pk_add_f32 v[40:41], v[42:43], v[40:41]
	v_pk_fma_f32 v[42:43], v[68:69], s[14:15], v[96:97] neg_lo:[0,0,1] neg_hi:[0,0,1]
	v_pk_add_f32 v[32:33], v[34:35], v[32:33]
	v_pk_fma_f32 v[34:35], v[68:69], s[28:29], v[112:113] neg_lo:[0,0,1] neg_hi:[0,0,1]
	v_mov_b32_e32 v136, v134
	v_mov_b32_e32 v43, v99
	;; [unrolled: 1-line block ×3, first 2 shown]
	v_pk_add_f32 v[126:127], v[136:137], v[126:127]
	v_pk_add_f32 v[40:41], v[42:43], v[40:41]
	v_pk_add_f32 v[32:33], v[34:35], v[32:33]
	ds_write2_b64 v53, v[102:103], v[126:127] offset0:4 offset1:5
	ds_write2_b64 v53, v[40:41], v[58:59] offset0:8 offset1:9
	ds_write_b64 v53, v[32:33] offset:80
.LBB0_19:
	s_or_b64 exec, exec, s[16:17]
	s_waitcnt lgkmcnt(0)
	; wave barrier
	s_waitcnt lgkmcnt(0)
	ds_read2_b64 v[34:37], v55 offset1:55
	v_mov_b32_e32 v32, v13
	ds_read2_b64 v[38:41], v55 offset0:110 offset1:165
	v_add_u32_e32 v53, 0x400, v55
	s_mov_b32 s14, 0x3f5db3d7
	s_waitcnt lgkmcnt(1)
	v_pk_mul_f32 v[32:33], v[32:33], v[36:37] op_sel:[0,1] op_sel_hi:[1,0]
	v_pk_mul_f32 v[42:43], v[12:13], v[36:37] op_sel:[0,1] op_sel_hi:[1,0]
	v_pk_fma_f32 v[32:33], v[12:13], v[36:37], v[32:33]
	s_waitcnt lgkmcnt(0)
	v_pk_mul_f32 v[48:49], v[8:9], v[40:41] op_sel:[0,1] op_sel_hi:[1,0]
	v_mov_b32_e32 v33, v42
	v_pk_fma_f32 v[36:37], v[12:13], v[36:37], v[32:33] op_sel:[0,1,0] op_sel_hi:[1,0,1] neg_lo:[1,0,0] neg_hi:[1,0,0]
	v_mov_b32_e32 v13, v14
	v_pk_mul_f32 v[44:45], v[12:13], v[38:39]
	v_mov_b32_e32 v13, v38
	v_pk_mul_f32 v[42:43], v[14:15], v[38:39]
	v_pk_mul_f32 v[38:39], v[14:15], v[12:13]
	v_mov_b32_e32 v12, v9
	v_pk_mul_f32 v[46:47], v[12:13], v[40:41] op_sel:[0,1] op_sel_hi:[1,0]
	ds_read2_b64 v[12:15], v53 offset0:92 offset1:147
	v_mov_b32_e32 v33, v48
	v_pk_fma_f32 v[46:47], v[8:9], v[40:41], v[46:47]
	v_pk_fma_f32 v[40:41], v[8:9], v[40:41], v[32:33] op_sel:[0,1,0] op_sel_hi:[1,0,1] neg_lo:[1,0,0] neg_hi:[1,0,0]
	v_mov_b32_e32 v8, v11
	s_waitcnt lgkmcnt(0)
	v_pk_mul_f32 v[50:51], v[8:9], v[12:13] op_sel:[0,1] op_sel_hi:[1,0]
	v_mov_b32_e32 v8, v5
	v_pk_mul_f32 v[60:61], v[8:9], v[14:15] op_sel:[0,1] op_sel_hi:[1,0]
	v_add_u32_e32 v8, 0x800, v55
	v_pk_mul_f32 v[48:49], v[10:11], v[12:13]
	v_pk_mul_f32 v[12:13], v[10:11], v[12:13] op_sel:[0,1] op_sel_hi:[1,0]
	ds_read2_b64 v[8:11], v8 offset0:74 offset1:129
	v_pk_mul_f32 v[56:57], v[4:5], v[14:15]
	v_pk_mul_f32 v[4:5], v[4:5], v[14:15] op_sel:[0,1] op_sel_hi:[1,0]
	v_mov_b32_e32 v14, v12
	v_mov_b32_e32 v15, v4
	;; [unrolled: 1-line block ×3, first 2 shown]
	v_pk_add_f32 v[12:13], v[14:15], v[4:5] neg_lo:[0,1] neg_hi:[0,1]
	v_mov_b32_e32 v4, v7
	s_waitcnt lgkmcnt(0)
	v_pk_mul_f32 v[4:5], v[4:5], v[8:9] op_sel:[0,1] op_sel_hi:[1,0]
	v_pk_mul_f32 v[14:15], v[6:7], v[8:9] op_sel:[0,1] op_sel_hi:[1,0]
	v_pk_fma_f32 v[4:5], v[6:7], v[8:9], v[4:5]
	v_mov_b32_e32 v36, v1
	v_mov_b32_e32 v5, v14
	v_pk_fma_f32 v[6:7], v[6:7], v[8:9], v[4:5] op_sel:[0,1,0] op_sel_hi:[1,0,1] neg_lo:[1,0,0] neg_hi:[1,0,0]
	v_pk_mul_f32 v[8:9], v[0:1], v[10:11]
	v_mov_b32_e32 v14, v42
	v_mov_b32_e32 v15, v8
	;; [unrolled: 1-line block ×3, first 2 shown]
	v_pk_add_f32 v[8:9], v[14:15], v[8:9]
	ds_read_b64 v[14:15], v55 offset:3520
	v_mov_b32_e32 v6, v11
	v_pk_mul_f32 v[10:11], v[36:37], v[10:11]
	v_mov_b32_e32 v33, v37
	v_pk_fma_f32 v[0:1], v[0:1], v[6:7], v[10:11] neg_lo:[0,0,1] neg_hi:[0,0,1]
	v_mov_b32_e32 v6, v3
	s_waitcnt lgkmcnt(0)
	v_pk_mul_f32 v[42:43], v[2:3], v[14:15] op_sel:[0,1] op_sel_hi:[1,0]
	v_pk_mul_f32 v[10:11], v[6:7], v[14:15] op_sel:[0,1] op_sel_hi:[1,0]
	v_mov_b32_e32 v5, v42
	v_pk_fma_f32 v[10:11], v[2:3], v[14:15], v[10:11]
	v_pk_fma_f32 v[2:3], v[2:3], v[14:15], v[4:5] op_sel:[0,1,0] op_sel_hi:[1,0,1] neg_lo:[1,0,0] neg_hi:[1,0,0]
	v_mov_b32_e32 v44, v12
	v_mov_b32_e32 v11, v3
	;; [unrolled: 1-line block ×3, first 2 shown]
	v_pk_add_f32 v[14:15], v[32:33], v[10:11]
	v_pk_add_f32 v[2:3], v[32:33], v[10:11] neg_lo:[0,1] neg_hi:[0,1]
	v_pk_add_f32 v[32:33], v[44:45], v[38:39] neg_lo:[0,1] neg_hi:[0,1]
	v_mov_b32_e32 v47, v41
	v_mov_b32_e32 v38, v33
	v_mov_b32_e32 v40, v3
	v_mov_b32_e32 v41, v0
	v_mov_b32_e32 v5, v7
	v_pk_add_f32 v[38:39], v[38:39], v[0:1]
	v_pk_add_f32 v[0:1], v[32:33], v[40:41] neg_lo:[0,1] neg_hi:[0,1]
	v_pk_add_f32 v[36:37], v[46:47], v[4:5]
	v_pk_add_f32 v[4:5], v[46:47], v[4:5] neg_lo:[0,1] neg_hi:[0,1]
	v_mul_f32_e32 v0, 0xbf248dbb, v32
	v_pk_mul_f32 v[6:7], v[4:5], s[14:15] op_sel_hi:[1,0]
	v_fmac_f32_e32 v0, 0x3f7c1c5c, v3
	v_sub_f32_e32 v45, v0, v7
	v_add_f32_e32 v0, v32, v3
	v_sub_f32_e32 v0, v0, v1
	v_mov_b32_e32 v49, v12
	v_mov_b32_e32 v51, v13
	;; [unrolled: 1-line block ×4, first 2 shown]
	v_mul_f32_e32 v44, 0x3f5db3d7, v0
	v_mov_b32_e32 v0, v9
	v_pk_add_f32 v[48:49], v[48:49], v[50:51]
	v_pk_add_f32 v[50:51], v[56:57], v[60:61]
	s_mov_b32 s16, 0x3f7c1c5c
	v_pk_add_f32 v[46:47], v[8:9], v[0:1]
	v_mov_b32_e32 v64, v8
	v_mov_b32_e32 v65, v48
	;; [unrolled: 1-line block ×4, first 2 shown]
	s_mov_b32 s17, 0x3f248dbb
	v_pk_add_f32 v[8:9], v[64:65], v[8:9] neg_lo:[0,1] neg_hi:[0,1]
	v_mul_f32_e32 v42, 0x3f248dbb, v3
	v_pk_mul_f32 v[64:65], v[8:9], s[16:17]
	v_add_f32_e32 v0, v9, v2
	v_pk_fma_f32 v[68:69], v[2:3], s[16:17], v[64:65] op_sel:[0,0,1] op_sel_hi:[0,1,0] neg_lo:[0,0,1] neg_hi:[0,0,1]
	v_pk_fma_f32 v[64:65], v[2:3], s[16:17], v[64:65] op_sel:[0,0,1] op_sel_hi:[0,1,0]
	v_pk_fma_f32 v[4:5], v[4:5], s[14:15], v[68:69] op_sel_hi:[1,0,1] neg_lo:[1,0,0] neg_hi:[1,0,0]
	v_pk_add_f32 v[64:65], v[64:65], v[6:7] op_sel_hi:[1,0]
	s_mov_b32 s20, 0x3eaf1d44
	v_mov_b32_e32 v5, v65
	v_sub_f32_e32 v0, v0, v8
	v_mov_b32_e32 v33, v9
	s_mov_b32 s26, 0xbf7c1c5c
	s_mov_b32 s18, 0xbf248dbb
	v_fmac_f32_e32 v42, 0x3f7c1c5c, v1
	v_fmac_f32_e32 v45, 0x3eaf1d44, v1
	v_pk_fma_f32 v[4:5], v[8:9], s[20:21], v[4:5] op_sel_hi:[1,0,1]
	v_mul_f32_e32 v43, 0x3f5db3d7, v0
	v_mov_b32_e32 v0, v1
	v_mov_b32_e32 v1, v8
	v_pk_mul_f32 v[8:9], v[32:33], s[26:27] op_sel_hi:[1,0]
	v_pk_mul_f32 v[10:11], v[36:37], 0.5 op_sel_hi:[1,0]
	v_pk_fma_f32 v[0:1], v[0:1], s[18:19], v[8:9] op_sel_hi:[1,0,1]
	v_add_f32_e32 v42, v7, v42
	v_pk_add_f32 v[0:1], v[6:7], v[0:1] op_sel:[1,0] op_sel_hi:[0,1]
	v_fmamk_f32 v6, v14, 0x3f441b7d, v34
	v_pk_add_f32 v[56:57], v[48:49], v[50:51]
	v_fmac_f32_e32 v6, 0x3e31d0d4, v46
	v_fmac_f32_e32 v42, 0x3eaf1d44, v32
	v_sub_f32_e32 v32, v6, v10
	v_fmamk_f32 v6, v56, 0x3f441b7d, v34
	s_mov_b32 s10, 0x3f441b7d
	v_mov_b32_e32 v66, v49
	v_mov_b32_e32 v67, v15
	v_fmac_f32_e32 v6, 0x3e31d0d4, v14
	v_mov_b32_e32 v60, v15
	v_mov_b32_e32 v61, v38
	s_mov_b32 s22, 0x3e31d0d4
	v_mov_b32_e32 v39, v49
	v_pk_fma_f32 v[8:9], v[2:3], s[20:21], v[0:1] op_sel:[1,0,0] op_sel_hi:[0,0,1]
	v_mov_b32_e32 v1, v49
	v_sub_f32_e32 v49, v6, v10
	v_pk_fma_f32 v[6:7], v[66:67], s[10:11], v[34:35] op_sel:[0,0,1] op_sel_hi:[1,0,1]
	s_mov_b32 s24, 0x3f708fb2
	v_pk_fma_f32 v[6:7], v[60:61], s[22:23], v[6:7] op_sel_hi:[1,0,1]
	v_pk_add_f32 v[62:63], v[46:47], v[14:15]
	v_pk_add_f32 v[6:7], v[6:7], v[10:11] op_sel:[0,1] neg_lo:[0,1] neg_hi:[0,1]
	s_mov_b32 s14, 0xbf708fb2
	v_pk_add_f32 v[2:3], v[36:37], v[34:35]
	v_pk_fma_f32 v[6:7], v[38:39], s[24:25], v[6:7] op_sel_hi:[1,0,1] neg_lo:[1,0,0] neg_hi:[1,0,0]
	s_mov_b32 s15, -0.5
	v_pk_add_f32 v[64:65], v[56:57], v[62:63]
	v_pk_add_f32 v[10:11], v[4:5], v[6:7]
	v_mov_b32_e32 v33, v3
	v_mov_b32_e32 v65, v46
	s_mov_b32 s16, s15
	s_mov_b32 s17, s14
	v_pk_fma_f32 v[6:7], v[4:5], 2.0, v[10:11] op_sel_hi:[1,0,1] neg_lo:[1,0,0] neg_hi:[1,0,0]
	v_pk_fma_f32 v[4:5], v[56:57], s[14:15], v[32:33]
	v_mov_b32_e32 v3, v49
	v_mul_f32_e32 v41, 0x3f441b7d, v38
	v_mul_f32_e32 v40, 0x3f441b7d, v46
	v_pk_add_f32 v[38:39], v[4:5], v[42:43] neg_lo:[0,1] neg_hi:[0,1]
	v_pk_add_f32 v[46:47], v[4:5], v[42:43]
	v_pk_fma_f32 v[2:3], v[64:65], s[16:17], v[2:3]
	v_mov_b32_e32 v63, v51
	v_mov_b32_e32 v0, v56
	v_pk_add_f32 v[56:57], v[2:3], v[44:45] neg_lo:[0,1] neg_hi:[0,1]
	v_pk_fma_f32 v[2:3], v[42:43], 2.0, v[38:39] op_sel_hi:[1,0,1]
	v_pk_fma_f32 v[4:5], v[42:43], 2.0, v[46:47] op_sel_hi:[1,0,1] neg_lo:[1,0,0] neg_hi:[1,0,0]
	v_pk_add_f32 v[42:43], v[36:37], v[62:63]
	v_mov_b32_e32 v49, v12
	v_pk_add_f32 v[42:43], v[48:49], v[42:43]
	v_mov_b32_e32 v51, v13
	v_pk_add_f32 v[12:13], v[50:51], v[42:43]
	v_pk_fma_f32 v[32:33], v[44:45], 2.0, v[56:57] op_sel_hi:[1,0,1]
	v_pk_add_f32 v[12:13], v[12:13], v[34:35]
	v_pk_add_f32 v[34:35], v[40:41], v[34:35]
	s_nop 0
	v_pk_fma_f32 v[0:1], v[0:1], s[22:23], v[34:35] op_sel_hi:[1,0,1]
	; wave barrier
	s_nop 0
	v_pk_fma_f32 v[0:1], v[36:37], 0.5, v[0:1] op_sel_hi:[1,0,1] neg_lo:[1,0,0] neg_hi:[1,0,0]
	v_mov_b32_e32 v39, v11
	v_pk_fma_f32 v[0:1], v[14:15], s[24:25], v[0:1] op_sel_hi:[1,0,1] neg_lo:[1,0,0] neg_hi:[1,0,0]
	v_mov_b32_e32 v4, v32
	v_pk_add_f32 v[14:15], v[0:1], v[8:9] neg_lo:[0,1] neg_hi:[0,1]
	v_pk_add_f32 v[34:35], v[0:1], v[8:9]
	v_pk_fma_f32 v[0:1], v[8:9], 2.0, v[14:15] op_sel_hi:[1,0,1]
	v_pk_fma_f32 v[8:9], v[8:9], 2.0, v[34:35] op_sel_hi:[1,0,1] neg_lo:[1,0,0] neg_hi:[1,0,0]
	v_mov_b32_e32 v15, v35
	v_mov_b32_e32 v1, v9
	;; [unrolled: 1-line block ×5, first 2 shown]
	ds_write2_b64 v100, v[8:9], v[56:57] offset0:22 offset1:33
	v_mov_b32_e32 v8, v33
	v_mov_b32_e32 v9, v6
	;; [unrolled: 1-line block ×3, first 2 shown]
	ds_write2_b64 v100, v[12:13], v[38:39] offset1:11
	ds_write2_b64 v100, v[14:15], v[0:1] offset0:44 offset1:55
	ds_write2_b64 v100, v[4:5], v[8:9] offset0:66 offset1:77
	ds_write_b64 v100, v[2:3] offset:704
	s_waitcnt lgkmcnt(0)
	; wave barrier
	s_waitcnt lgkmcnt(0)
	ds_read2_b64 v[8:11], v55 offset1:99
	ds_read2_b64 v[12:15], v53 offset0:70 offset1:169
	ds_read_b64 v[34:35], v55 offset:3168
	s_and_saveexec_b64 s[10:11], s[2:3]
	s_xor_b64 s[2:3], exec, s[10:11]
; %bb.20:
	v_mov_b32_e32 v3, v5
; %bb.21:
	s_or_saveexec_b64 s[2:3], s[2:3]
	v_mov_b32_e32 v40, v26
	v_mov_b32_e32 v41, v26
	;; [unrolled: 1-line block ×12, first 2 shown]
	s_xor_b64 exec, exec, s[2:3]
	s_cbranch_execz .LBB0_23
; %bb.22:
	ds_read2_b64 v[0:3], v55 offset0:55 offset1:154
	v_add_u32_e32 v4, 0x400, v55
	ds_read2_b64 v[4:7], v4 offset0:125 offset1:224
	ds_read_b64 v[58:59], v55 offset:3608
	s_waitcnt lgkmcnt(2)
	v_mov_b32_e32 v32, v2
	s_waitcnt lgkmcnt(1)
	v_mov_b32_e32 v33, v4
	v_mov_b32_e32 v2, v6
	;; [unrolled: 1-line block ×3, first 2 shown]
.LBB0_23:
	s_or_b64 exec, exec, s[2:3]
	s_waitcnt lgkmcnt(2)
	v_pk_mul_f32 v[4:5], v[24:25], v[10:11]
	s_waitcnt lgkmcnt(1)
	v_pk_mul_f32 v[24:25], v[26:27], v[12:13]
	v_pk_mul_f32 v[26:27], v[28:29], v[14:15]
	s_waitcnt lgkmcnt(0)
	v_pk_mul_f32 v[28:29], v[30:31], v[34:35]
	v_pk_fma_f32 v[30:31], v[42:43], v[10:11], v[4:5] op_sel:[0,0,1] op_sel_hi:[1,1,0]
	v_pk_fma_f32 v[4:5], v[42:43], v[10:11], v[4:5] op_sel:[0,0,1] op_sel_hi:[1,1,0] neg_lo:[0,0,1] neg_hi:[0,0,1]
	v_pk_fma_f32 v[10:11], v[40:41], v[12:13], v[24:25] op_sel:[0,0,1] op_sel_hi:[1,1,0] neg_lo:[0,0,1] neg_hi:[0,0,1]
	v_mov_b32_e32 v31, v5
	v_pk_fma_f32 v[4:5], v[40:41], v[12:13], v[24:25] op_sel:[0,0,1] op_sel_hi:[1,1,0]
	v_pk_fma_f32 v[12:13], v[38:39], v[14:15], v[26:27] op_sel:[0,0,1] op_sel_hi:[1,1,0] neg_lo:[0,0,1] neg_hi:[0,0,1]
	v_mov_b32_e32 v5, v11
	v_pk_fma_f32 v[10:11], v[38:39], v[14:15], v[26:27] op_sel:[0,0,1] op_sel_hi:[1,1,0]
	;; [unrolled: 3-line block ×3, first 2 shown]
	v_pk_add_f32 v[24:25], v[4:5], v[10:11]
	v_mov_b32_e32 v13, v15
	v_pk_add_f32 v[26:27], v[30:31], v[12:13] neg_lo:[0,1] neg_hi:[0,1]
	s_mov_b32 s10, 0x3f737871
	v_pk_fma_f32 v[24:25], v[24:25], 0.5, v[8:9] op_sel_hi:[1,0,1] neg_lo:[1,0,0] neg_hi:[1,0,0]
	v_pk_mul_f32 v[28:29], v[26:27], s[10:11] op_sel_hi:[1,0]
	v_pk_add_f32 v[34:35], v[4:5], v[10:11] neg_lo:[0,1] neg_hi:[0,1]
	s_mov_b32 s14, 0x3f167918
	v_pk_add_f32 v[38:39], v[30:31], v[4:5] neg_lo:[0,1] neg_hi:[0,1]
	v_pk_add_f32 v[40:41], v[12:13], v[10:11] neg_lo:[0,1] neg_hi:[0,1]
	v_pk_add_f32 v[14:15], v[8:9], v[30:31]
	v_pk_mul_f32 v[36:37], v[34:35], s[14:15] op_sel_hi:[1,0]
	v_pk_add_f32 v[38:39], v[38:39], v[40:41]
	v_pk_add_f32 v[40:41], v[24:25], v[28:29] op_sel:[0,1] op_sel_hi:[1,0] neg_lo:[0,1] neg_hi:[0,1]
	v_pk_add_f32 v[24:25], v[24:25], v[28:29] op_sel:[0,1] op_sel_hi:[1,0]
	v_pk_add_f32 v[14:15], v[14:15], v[4:5]
	v_pk_add_f32 v[24:25], v[24:25], v[36:37] op_sel:[0,1] op_sel_hi:[1,0]
	v_pk_add_f32 v[28:29], v[40:41], v[36:37] op_sel:[0,1] op_sel_hi:[1,0] neg_lo:[0,1] neg_hi:[0,1]
	v_pk_add_f32 v[14:15], v[14:15], v[10:11]
	s_mov_b32 s2, 0x3e9e377a
	v_mov_b32_e32 v36, v28
	v_mov_b32_e32 v37, v25
	v_pk_add_f32 v[14:15], v[14:15], v[12:13]
	v_pk_fma_f32 v[36:37], v[38:39], s[2:3], v[36:37] op_sel_hi:[1,0,1]
	ds_write2_b64 v55, v[14:15], v[36:37] offset1:99
	v_pk_add_f32 v[14:15], v[30:31], v[12:13]
	v_pk_add_f32 v[4:5], v[4:5], v[30:31] neg_lo:[0,1] neg_hi:[0,1]
	v_pk_add_f32 v[10:11], v[10:11], v[12:13] neg_lo:[0,1] neg_hi:[0,1]
	v_pk_fma_f32 v[8:9], v[14:15], 0.5, v[8:9] op_sel_hi:[1,0,1] neg_lo:[1,0,0] neg_hi:[1,0,0]
	v_pk_add_f32 v[4:5], v[4:5], v[10:11]
	v_pk_mul_f32 v[10:11], v[34:35], s[10:11] op_sel_hi:[1,0]
	v_pk_mul_f32 v[12:13], v[26:27], s[14:15] op_sel_hi:[1,0]
	v_pk_add_f32 v[14:15], v[8:9], v[10:11] op_sel:[0,1] op_sel_hi:[1,0]
	v_pk_add_f32 v[8:9], v[8:9], v[10:11] op_sel:[0,1] op_sel_hi:[1,0] neg_lo:[0,1] neg_hi:[0,1]
	v_pk_add_f32 v[10:11], v[14:15], v[12:13] op_sel:[0,1] op_sel_hi:[1,0] neg_lo:[0,1] neg_hi:[0,1]
	v_pk_add_f32 v[8:9], v[8:9], v[12:13] op_sel:[0,1] op_sel_hi:[1,0]
	v_mov_b32_e32 v12, v10
	v_mov_b32_e32 v13, v9
	;; [unrolled: 1-line block ×3, first 2 shown]
	v_pk_fma_f32 v[12:13], v[4:5], s[2:3], v[12:13] op_sel_hi:[1,0,1]
	v_pk_fma_f32 v[8:9], v[4:5], s[2:3], v[8:9] op_sel_hi:[1,0,1]
	v_add_u32_e32 v4, 0x400, v55
	v_mov_b32_e32 v25, v29
	ds_write2_b64 v4, v[12:13], v[8:9] offset0:70 offset1:169
	v_pk_fma_f32 v[8:9], v[38:39], s[2:3], v[24:25] op_sel_hi:[1,0,1]
	ds_write_b64 v55, v[8:9] offset:3168
	s_and_saveexec_b64 s[16:17], s[0:1]
	s_cbranch_execz .LBB0_25
; %bb.24:
	v_pk_mul_f32 v[12:13], v[20:21], v[2:3] op_sel:[0,1]
	v_pk_mul_f32 v[10:11], v[16:17], v[6:7] op_sel:[0,1]
	v_pk_mul_f32 v[6:7], v[22:23], v[6:7] op_sel_hi:[1,0]
	v_pk_fma_f32 v[14:15], v[20:21], v[32:33], v[12:13] op_sel:[0,0,1] op_sel_hi:[1,1,0]
	v_pk_fma_f32 v[12:13], v[20:21], v[32:33], v[12:13] op_sel:[0,0,1] op_sel_hi:[1,0,0] neg_lo:[1,0,0] neg_hi:[1,0,0]
	v_pk_fma_f32 v[20:21], v[22:23], v[32:33], v[6:7] op_sel:[0,1,1] op_sel_hi:[1,1,0]
	v_mov_b32_e32 v15, v13
	v_pk_fma_f32 v[6:7], v[22:23], v[32:33], v[6:7] op_sel:[0,1,1] op_sel_hi:[1,1,0] neg_lo:[1,0,0] neg_hi:[1,0,0]
	v_pk_add_f32 v[12:13], v[14:15], v[0:1]
	v_mov_b32_e32 v21, v7
	v_pk_add_f32 v[6:7], v[20:21], v[12:13]
	v_pk_fma_f32 v[12:13], v[16:17], v[2:3], v[10:11] op_sel:[0,0,1] op_sel_hi:[1,1,0]
	v_pk_fma_f32 v[2:3], v[16:17], v[2:3], v[10:11] op_sel:[0,0,1] op_sel_hi:[1,0,0] neg_lo:[1,0,0] neg_hi:[1,0,0]
	v_pk_mul_f32 v[8:9], v[18:19], v[58:59] op_sel:[0,1]
	v_mov_b32_e32 v13, v3
	v_pk_add_f32 v[2:3], v[12:13], v[6:7]
	v_pk_fma_f32 v[6:7], v[18:19], v[58:59], v[8:9] op_sel:[0,0,1] op_sel_hi:[1,1,0]
	v_pk_fma_f32 v[8:9], v[18:19], v[58:59], v[8:9] op_sel:[0,0,1] op_sel_hi:[1,0,0] neg_lo:[1,0,0] neg_hi:[1,0,0]
	v_pk_add_f32 v[16:17], v[20:21], v[12:13]
	v_mov_b32_e32 v7, v9
	v_pk_add_f32 v[10:11], v[14:15], v[6:7] neg_lo:[0,1] neg_hi:[0,1]
	v_pk_add_f32 v[8:9], v[20:21], v[12:13] neg_lo:[0,1] neg_hi:[0,1]
	v_pk_fma_f32 v[16:17], v[16:17], 0.5, v[0:1] op_sel_hi:[1,0,1] neg_lo:[1,0,0] neg_hi:[1,0,0]
	v_pk_mul_f32 v[18:19], v[10:11], s[10:11] op_sel_hi:[1,0]
	v_pk_add_f32 v[24:25], v[14:15], v[20:21] neg_lo:[0,1] neg_hi:[0,1]
	v_pk_add_f32 v[26:27], v[6:7], v[12:13] neg_lo:[0,1] neg_hi:[0,1]
	v_pk_mul_f32 v[22:23], v[8:9], s[14:15] op_sel_hi:[1,0]
	v_pk_add_f32 v[24:25], v[24:25], v[26:27]
	v_pk_add_f32 v[26:27], v[16:17], v[18:19] op_sel:[0,1] op_sel_hi:[1,0] neg_lo:[0,1] neg_hi:[0,1]
	v_pk_add_f32 v[16:17], v[16:17], v[18:19] op_sel:[0,1] op_sel_hi:[1,0]
	v_pk_add_f32 v[2:3], v[6:7], v[2:3]
	v_pk_add_f32 v[16:17], v[16:17], v[22:23] op_sel:[0,1] op_sel_hi:[1,0]
	v_pk_add_f32 v[18:19], v[26:27], v[22:23] op_sel:[0,1] op_sel_hi:[1,0] neg_lo:[0,1] neg_hi:[0,1]
	v_pk_add_f32 v[12:13], v[12:13], v[6:7] neg_lo:[0,1] neg_hi:[0,1]
	v_pk_add_f32 v[6:7], v[14:15], v[6:7]
	v_mov_b32_e32 v22, v18
	v_mov_b32_e32 v23, v17
	v_pk_fma_f32 v[0:1], v[6:7], 0.5, v[0:1] op_sel_hi:[1,0,1] neg_lo:[1,0,0] neg_hi:[1,0,0]
	v_pk_mul_f32 v[6:7], v[8:9], s[10:11] op_sel_hi:[1,0]
	v_pk_fma_f32 v[22:23], v[24:25], s[2:3], v[22:23] op_sel_hi:[1,0,1]
	v_pk_mul_f32 v[8:9], v[10:11], s[14:15] op_sel_hi:[1,0]
	v_pk_add_f32 v[10:11], v[0:1], v[6:7] op_sel:[0,1] op_sel_hi:[1,0]
	v_pk_add_f32 v[0:1], v[0:1], v[6:7] op_sel:[0,1] op_sel_hi:[1,0] neg_lo:[0,1] neg_hi:[0,1]
	ds_write2_b64 v55, v[2:3], v[22:23] offset0:55 offset1:154
	v_pk_add_f32 v[2:3], v[20:21], v[14:15] neg_lo:[0,1] neg_hi:[0,1]
	v_pk_add_f32 v[0:1], v[0:1], v[8:9] op_sel:[0,1] op_sel_hi:[1,0]
	v_pk_add_f32 v[6:7], v[10:11], v[8:9] op_sel:[0,1] op_sel_hi:[1,0] neg_lo:[0,1] neg_hi:[0,1]
	v_pk_add_f32 v[2:3], v[2:3], v[12:13]
	v_mov_b32_e32 v8, v6
	v_mov_b32_e32 v9, v1
	;; [unrolled: 1-line block ×3, first 2 shown]
	v_pk_fma_f32 v[8:9], v[2:3], s[2:3], v[8:9] op_sel_hi:[1,0,1]
	v_pk_fma_f32 v[0:1], v[2:3], s[2:3], v[0:1] op_sel_hi:[1,0,1]
	v_mov_b32_e32 v17, v19
	ds_write2_b64 v4, v[8:9], v[0:1] offset0:125 offset1:224
	v_pk_fma_f32 v[0:1], v[24:25], s[2:3], v[16:17] op_sel_hi:[1,0,1]
	ds_write_b64 v55, v[0:1] offset:3608
.LBB0_25:
	s_or_b64 exec, exec, s[16:17]
	s_waitcnt lgkmcnt(0)
	; wave barrier
	s_waitcnt lgkmcnt(0)
	s_and_b64 exec, exec, vcc
	s_cbranch_execz .LBB0_27
; %bb.26:
	global_load_dwordx2 v[8:9], v55, s[8:9]
	global_load_dwordx2 v[10:11], v55, s[8:9] offset:360
	global_load_dwordx2 v[12:13], v55, s[8:9] offset:720
	;; [unrolled: 1-line block ×3, first 2 shown]
	ds_read_b64 v[16:17], v55
	global_load_dwordx2 v[20:21], v55, s[8:9] offset:1440
	ds_read2_b64 v[0:3], v55 offset0:45 offset1:90
	ds_read2_b64 v[4:7], v55 offset0:135 offset1:180
	global_load_dwordx2 v[26:27], v55, s[8:9] offset:1800
	global_load_dwordx2 v[28:29], v55, s[8:9] offset:2160
	v_mad_u64_u32 v[22:23], s[0:1], s6, v54, 0
	v_mad_u64_u32 v[24:25], s[2:3], s4, v52, 0
	v_mov_b32_e32 v30, v23
	v_mov_b32_e32 v32, v25
	v_mad_u64_u32 v[30:31], s[6:7], s7, v54, v[30:31]
	v_mad_u64_u32 v[32:33], s[6:7], s5, v52, v[32:33]
	v_mov_b32_e32 v25, v32
	s_mov_b32 s0, 0xb37565e2
	v_mov_b32_e32 v18, s12
	v_mov_b32_e32 v19, s13
	s_mov_b32 s1, 0x3f608cab
	v_mov_b32_e32 v23, v30
	v_lshl_add_u64 v[18:19], v[22:23], 3, v[18:19]
	v_mov_b32_e32 v36, 0x168
	v_lshl_add_u64 v[18:19], v[24:25], 3, v[18:19]
	s_mul_i32 s2, s5, 0x168
	v_mad_u64_u32 v[22:23], s[6:7], s4, v36, v[18:19]
	v_add_u32_e32 v23, s2, v23
	v_mad_u64_u32 v[24:25], s[6:7], s4, v36, v[22:23]
	v_add_u32_e32 v25, s2, v25
	;; [unrolled: 2-line block ×3, first 2 shown]
	s_waitcnt vmcnt(6) lgkmcnt(2)
	v_mul_f32_e32 v32, v17, v9
	v_mul_f32_e32 v9, v16, v9
	v_fmac_f32_e32 v32, v16, v8
	v_fma_f32 v16, v8, v17, -v9
	global_load_dwordx2 v[8:9], v55, s[8:9] offset:2520
	s_waitcnt vmcnt(5) lgkmcnt(1)
	v_mul_f32_e32 v34, v3, v13
	v_mul_f32_e32 v13, v2, v13
	s_waitcnt vmcnt(4) lgkmcnt(0)
	v_mul_f32_e32 v35, v5, v15
	v_mul_f32_e32 v15, v4, v15
	v_fmac_f32_e32 v34, v2, v12
	v_fma_f32 v17, v12, v3, -v13
	v_fmac_f32_e32 v35, v4, v14
	v_fma_f32 v37, v14, v5, -v15
	v_cvt_f64_f32_e32 v[2:3], v16
	v_cvt_f64_f32_e32 v[12:13], v34
	;; [unrolled: 1-line block ×4, first 2 shown]
	global_load_dwordx2 v[34:35], v55, s[8:9] offset:2880
	v_mul_f32_e32 v33, v1, v11
	v_mul_f32_e32 v11, v0, v11
	v_fmac_f32_e32 v33, v0, v10
	v_fma_f32 v10, v10, v1, -v11
	v_cvt_f64_f32_e32 v[0:1], v32
	v_cvt_f64_f32_e32 v[4:5], v33
	v_mul_f64 v[0:1], v[0:1], s[0:1]
	v_mul_f64 v[2:3], v[2:3], s[0:1]
	;; [unrolled: 1-line block ×4, first 2 shown]
	v_cvt_f32_f64_e32 v0, v[0:1]
	v_cvt_f32_f64_e32 v1, v[2:3]
	;; [unrolled: 1-line block ×4, first 2 shown]
	global_load_dwordx2 v[12:13], v55, s[8:9] offset:3240
	v_cvt_f64_f32_e32 v[10:11], v10
	global_store_dwordx2 v[18:19], v[0:1], off
	s_waitcnt vmcnt(6)
	v_mul_f32_e32 v0, v7, v21
	v_fmac_f32_e32 v0, v6, v20
	v_cvt_f64_f32_e32 v[32:33], v37
	v_mul_f64 v[10:11], v[10:11], s[0:1]
	v_cvt_f64_f32_e32 v[0:1], v0
	v_mul_f64 v[14:15], v[14:15], s[0:1]
	v_mul_f64 v[16:17], v[16:17], s[0:1]
	;; [unrolled: 1-line block ×3, first 2 shown]
	v_cvt_f32_f64_e32 v3, v[10:11]
	v_mul_f64 v[0:1], v[0:1], s[0:1]
	v_cvt_f32_f64_e32 v5, v[14:15]
	v_cvt_f32_f64_e32 v10, v[16:17]
	;; [unrolled: 1-line block ×3, first 2 shown]
	global_store_dwordx2 v[22:23], v[2:3], off
	global_store_dwordx2 v[24:25], v[4:5], off
	;; [unrolled: 1-line block ×3, first 2 shown]
	v_cvt_f32_f64_e32 v4, v[0:1]
	v_mul_f32_e32 v0, v6, v21
	v_fma_f32 v0, v20, v7, -v0
	global_load_dwordx2 v[6:7], v55, s[8:9] offset:3600
	v_cvt_f64_f32_e32 v[0:1], v0
	v_mul_f64 v[0:1], v[0:1], s[0:1]
	v_cvt_f32_f64_e32 v5, v[0:1]
	v_add_u32_e32 v0, 0x400, v55
	ds_read2_b64 v[0:3], v0 offset0:97 offset1:142
	v_mad_u64_u32 v[10:11], s[6:7], s4, v36, v[30:31]
	v_add_u32_e32 v11, s2, v11
	global_store_dwordx2 v[10:11], v[4:5], off
	s_waitcnt vmcnt(10) lgkmcnt(0)
	v_mul_f32_e32 v4, v1, v27
	v_fmac_f32_e32 v4, v0, v26
	v_mul_f32_e32 v0, v0, v27
	v_fma_f32 v0, v26, v1, -v0
	v_cvt_f64_f32_e32 v[4:5], v4
	v_cvt_f64_f32_e32 v[0:1], v0
	v_mul_f64 v[4:5], v[4:5], s[0:1]
	v_mul_f64 v[0:1], v[0:1], s[0:1]
	v_cvt_f32_f64_e32 v4, v[4:5]
	v_cvt_f32_f64_e32 v5, v[0:1]
	s_waitcnt vmcnt(9)
	v_mul_f32_e32 v0, v3, v29
	v_fmac_f32_e32 v0, v2, v28
	v_mad_u64_u32 v[10:11], s[6:7], s4, v36, v[10:11]
	v_cvt_f64_f32_e32 v[0:1], v0
	v_add_u32_e32 v11, s2, v11
	v_mul_f64 v[0:1], v[0:1], s[0:1]
	global_store_dwordx2 v[10:11], v[4:5], off
	v_cvt_f32_f64_e32 v4, v[0:1]
	v_mul_f32_e32 v0, v2, v29
	v_fma_f32 v0, v28, v3, -v0
	v_cvt_f64_f32_e32 v[0:1], v0
	v_mul_f64 v[0:1], v[0:1], s[0:1]
	v_add_u32_e32 v14, 0x800, v55
	v_cvt_f32_f64_e32 v5, v[0:1]
	ds_read2_b64 v[0:3], v14 offset0:59 offset1:104
	v_mad_u64_u32 v[10:11], s[6:7], s4, v36, v[10:11]
	v_add_u32_e32 v11, s2, v11
	global_store_dwordx2 v[10:11], v[4:5], off
	s_waitcnt vmcnt(10) lgkmcnt(0)
	v_mul_f32_e32 v4, v1, v9
	v_fmac_f32_e32 v4, v0, v8
	v_mul_f32_e32 v0, v0, v9
	v_fma_f32 v0, v8, v1, -v0
	v_cvt_f64_f32_e32 v[4:5], v4
	v_cvt_f64_f32_e32 v[0:1], v0
	v_mul_f64 v[4:5], v[4:5], s[0:1]
	v_mul_f64 v[0:1], v[0:1], s[0:1]
	v_cvt_f32_f64_e32 v4, v[4:5]
	v_cvt_f32_f64_e32 v5, v[0:1]
	s_waitcnt vmcnt(9)
	v_mul_f32_e32 v0, v3, v35
	v_fmac_f32_e32 v0, v2, v34
	v_mad_u64_u32 v[8:9], s[6:7], s4, v36, v[10:11]
	v_cvt_f64_f32_e32 v[0:1], v0
	v_add_u32_e32 v9, s2, v9
	v_mul_f64 v[0:1], v[0:1], s[0:1]
	global_store_dwordx2 v[8:9], v[4:5], off
	v_cvt_f32_f64_e32 v4, v[0:1]
	v_mul_f32_e32 v0, v2, v35
	v_fma_f32 v0, v34, v3, -v0
	v_cvt_f64_f32_e32 v[0:1], v0
	v_mul_f64 v[0:1], v[0:1], s[0:1]
	v_cvt_f32_f64_e32 v5, v[0:1]
	ds_read2_b64 v[0:3], v14 offset0:149 offset1:194
	v_mad_u64_u32 v[8:9], s[6:7], s4, v36, v[8:9]
	v_add_u32_e32 v9, s2, v9
	global_store_dwordx2 v[8:9], v[4:5], off
	s_waitcnt vmcnt(10) lgkmcnt(0)
	v_mul_f32_e32 v4, v1, v13
	v_fmac_f32_e32 v4, v0, v12
	v_mul_f32_e32 v0, v0, v13
	v_fma_f32 v0, v12, v1, -v0
	v_cvt_f64_f32_e32 v[4:5], v4
	v_cvt_f64_f32_e32 v[0:1], v0
	v_mul_f64 v[4:5], v[4:5], s[0:1]
	v_mul_f64 v[0:1], v[0:1], s[0:1]
	v_cvt_f32_f64_e32 v4, v[4:5]
	v_cvt_f32_f64_e32 v5, v[0:1]
	v_mad_u64_u32 v[0:1], s[6:7], s4, v36, v[8:9]
	v_add_u32_e32 v1, s2, v1
	global_store_dwordx2 v[0:1], v[4:5], off
	s_waitcnt vmcnt(6)
	v_mul_f32_e32 v4, v3, v7
	v_fmac_f32_e32 v4, v2, v6
	v_mul_f32_e32 v2, v2, v7
	v_fma_f32 v2, v6, v3, -v2
	v_cvt_f64_f32_e32 v[4:5], v4
	v_cvt_f64_f32_e32 v[2:3], v2
	v_mul_f64 v[4:5], v[4:5], s[0:1]
	v_mul_f64 v[2:3], v[2:3], s[0:1]
	v_mad_u64_u32 v[0:1], s[0:1], s4, v36, v[0:1]
	v_cvt_f32_f64_e32 v4, v[4:5]
	v_cvt_f32_f64_e32 v5, v[2:3]
	v_add_u32_e32 v1, s2, v1
	global_store_dwordx2 v[0:1], v[4:5], off
.LBB0_27:
	s_endpgm
	.section	.rodata,"a",@progbits
	.p2align	6, 0x0
	.amdhsa_kernel bluestein_single_fwd_len495_dim1_sp_op_CI_CI
		.amdhsa_group_segment_fixed_size 3960
		.amdhsa_private_segment_fixed_size 0
		.amdhsa_kernarg_size 104
		.amdhsa_user_sgpr_count 2
		.amdhsa_user_sgpr_dispatch_ptr 0
		.amdhsa_user_sgpr_queue_ptr 0
		.amdhsa_user_sgpr_kernarg_segment_ptr 1
		.amdhsa_user_sgpr_dispatch_id 0
		.amdhsa_user_sgpr_kernarg_preload_length 0
		.amdhsa_user_sgpr_kernarg_preload_offset 0
		.amdhsa_user_sgpr_private_segment_size 0
		.amdhsa_uses_dynamic_stack 0
		.amdhsa_enable_private_segment 0
		.amdhsa_system_sgpr_workgroup_id_x 1
		.amdhsa_system_sgpr_workgroup_id_y 0
		.amdhsa_system_sgpr_workgroup_id_z 0
		.amdhsa_system_sgpr_workgroup_info 0
		.amdhsa_system_vgpr_workitem_id 0
		.amdhsa_next_free_vgpr 138
		.amdhsa_next_free_sgpr 48
		.amdhsa_accum_offset 140
		.amdhsa_reserve_vcc 1
		.amdhsa_float_round_mode_32 0
		.amdhsa_float_round_mode_16_64 0
		.amdhsa_float_denorm_mode_32 3
		.amdhsa_float_denorm_mode_16_64 3
		.amdhsa_dx10_clamp 1
		.amdhsa_ieee_mode 1
		.amdhsa_fp16_overflow 0
		.amdhsa_tg_split 0
		.amdhsa_exception_fp_ieee_invalid_op 0
		.amdhsa_exception_fp_denorm_src 0
		.amdhsa_exception_fp_ieee_div_zero 0
		.amdhsa_exception_fp_ieee_overflow 0
		.amdhsa_exception_fp_ieee_underflow 0
		.amdhsa_exception_fp_ieee_inexact 0
		.amdhsa_exception_int_div_zero 0
	.end_amdhsa_kernel
	.text
.Lfunc_end0:
	.size	bluestein_single_fwd_len495_dim1_sp_op_CI_CI, .Lfunc_end0-bluestein_single_fwd_len495_dim1_sp_op_CI_CI
                                        ; -- End function
	.section	.AMDGPU.csdata,"",@progbits
; Kernel info:
; codeLenInByte = 10936
; NumSgprs: 54
; NumVgprs: 138
; NumAgprs: 0
; TotalNumVgprs: 138
; ScratchSize: 0
; MemoryBound: 0
; FloatMode: 240
; IeeeMode: 1
; LDSByteSize: 3960 bytes/workgroup (compile time only)
; SGPRBlocks: 6
; VGPRBlocks: 17
; NumSGPRsForWavesPerEU: 54
; NumVGPRsForWavesPerEU: 138
; AccumOffset: 140
; Occupancy: 3
; WaveLimiterHint : 1
; COMPUTE_PGM_RSRC2:SCRATCH_EN: 0
; COMPUTE_PGM_RSRC2:USER_SGPR: 2
; COMPUTE_PGM_RSRC2:TRAP_HANDLER: 0
; COMPUTE_PGM_RSRC2:TGID_X_EN: 1
; COMPUTE_PGM_RSRC2:TGID_Y_EN: 0
; COMPUTE_PGM_RSRC2:TGID_Z_EN: 0
; COMPUTE_PGM_RSRC2:TIDIG_COMP_CNT: 0
; COMPUTE_PGM_RSRC3_GFX90A:ACCUM_OFFSET: 34
; COMPUTE_PGM_RSRC3_GFX90A:TG_SPLIT: 0
	.text
	.p2alignl 6, 3212836864
	.fill 256, 4, 3212836864
	.type	__hip_cuid_d4977c85057b3138,@object ; @__hip_cuid_d4977c85057b3138
	.section	.bss,"aw",@nobits
	.globl	__hip_cuid_d4977c85057b3138
__hip_cuid_d4977c85057b3138:
	.byte	0                               ; 0x0
	.size	__hip_cuid_d4977c85057b3138, 1

	.ident	"AMD clang version 19.0.0git (https://github.com/RadeonOpenCompute/llvm-project roc-6.4.0 25133 c7fe45cf4b819c5991fe208aaa96edf142730f1d)"
	.section	".note.GNU-stack","",@progbits
	.addrsig
	.addrsig_sym __hip_cuid_d4977c85057b3138
	.amdgpu_metadata
---
amdhsa.kernels:
  - .agpr_count:     0
    .args:
      - .actual_access:  read_only
        .address_space:  global
        .offset:         0
        .size:           8
        .value_kind:     global_buffer
      - .actual_access:  read_only
        .address_space:  global
        .offset:         8
        .size:           8
        .value_kind:     global_buffer
      - .actual_access:  read_only
        .address_space:  global
        .offset:         16
        .size:           8
        .value_kind:     global_buffer
      - .actual_access:  read_only
        .address_space:  global
        .offset:         24
        .size:           8
        .value_kind:     global_buffer
      - .actual_access:  read_only
        .address_space:  global
        .offset:         32
        .size:           8
        .value_kind:     global_buffer
      - .offset:         40
        .size:           8
        .value_kind:     by_value
      - .address_space:  global
        .offset:         48
        .size:           8
        .value_kind:     global_buffer
      - .address_space:  global
        .offset:         56
        .size:           8
        .value_kind:     global_buffer
      - .address_space:  global
        .offset:         64
        .size:           8
        .value_kind:     global_buffer
      - .address_space:  global
        .offset:         72
        .size:           8
        .value_kind:     global_buffer
      - .offset:         80
        .size:           4
        .value_kind:     by_value
      - .address_space:  global
        .offset:         88
        .size:           8
        .value_kind:     global_buffer
      - .address_space:  global
        .offset:         96
        .size:           8
        .value_kind:     global_buffer
    .group_segment_fixed_size: 3960
    .kernarg_segment_align: 8
    .kernarg_segment_size: 104
    .language:       OpenCL C
    .language_version:
      - 2
      - 0
    .max_flat_workgroup_size: 55
    .name:           bluestein_single_fwd_len495_dim1_sp_op_CI_CI
    .private_segment_fixed_size: 0
    .sgpr_count:     54
    .sgpr_spill_count: 0
    .symbol:         bluestein_single_fwd_len495_dim1_sp_op_CI_CI.kd
    .uniform_work_group_size: 1
    .uses_dynamic_stack: false
    .vgpr_count:     138
    .vgpr_spill_count: 0
    .wavefront_size: 64
amdhsa.target:   amdgcn-amd-amdhsa--gfx950
amdhsa.version:
  - 1
  - 2
...

	.end_amdgpu_metadata
